;; amdgpu-corpus repo=ROCm/rocFFT kind=compiled arch=gfx906 opt=O3
	.text
	.amdgcn_target "amdgcn-amd-amdhsa--gfx906"
	.amdhsa_code_object_version 6
	.protected	bluestein_single_fwd_len238_dim1_sp_op_CI_CI ; -- Begin function bluestein_single_fwd_len238_dim1_sp_op_CI_CI
	.globl	bluestein_single_fwd_len238_dim1_sp_op_CI_CI
	.p2align	8
	.type	bluestein_single_fwd_len238_dim1_sp_op_CI_CI,@function
bluestein_single_fwd_len238_dim1_sp_op_CI_CI: ; @bluestein_single_fwd_len238_dim1_sp_op_CI_CI
; %bb.0:
	v_mul_u32_u24_e32 v1, 0xf10, v0
	s_load_dwordx4 s[0:3], s[4:5], 0x28
	v_lshrrev_b32_e32 v1, 16, v1
	v_mad_u64_u32 v[44:45], s[6:7], s6, 3, v[1:2]
	v_mov_b32_e32 v45, 0
	s_waitcnt lgkmcnt(0)
	v_cmp_gt_u64_e32 vcc, s[0:1], v[44:45]
	s_and_saveexec_b64 s[0:1], vcc
	s_cbranch_execz .LBB0_15
; %bb.1:
	s_mov_b32 s0, 0xaaaaaaab
	v_mul_hi_u32 v2, v44, s0
	v_mul_lo_u16_e32 v1, 17, v1
	s_load_dwordx2 s[12:13], s[4:5], 0x0
	s_load_dwordx2 s[14:15], s[4:5], 0x38
	v_sub_u16_e32 v75, v0, v1
	v_lshrrev_b32_e32 v0, 1, v2
	v_lshl_add_u32 v0, v0, 1, v0
	v_sub_u32_e32 v0, v44, v0
	v_mul_u32_u24_e32 v77, 0xee, v0
	v_cmp_gt_u16_e32 vcc, 14, v75
	v_lshlrev_b32_e32 v76, 3, v75
	v_lshlrev_b32_e32 v78, 3, v77
	s_and_saveexec_b64 s[6:7], vcc
	s_cbranch_execz .LBB0_3
; %bb.2:
	s_load_dwordx2 s[0:1], s[4:5], 0x18
	v_or_b32_e32 v28, 0x70, v75
	v_or_b32_e32 v65, 0xe0, v75
	s_waitcnt lgkmcnt(0)
	s_load_dwordx4 s[8:11], s[0:1], 0x0
	s_waitcnt lgkmcnt(0)
	v_mad_u64_u32 v[0:1], s[0:1], s10, v44, 0
	v_mad_u64_u32 v[2:3], s[0:1], s8, v75, 0
	;; [unrolled: 1-line block ×4, first 2 shown]
	v_mov_b32_e32 v1, v4
	v_lshlrev_b64 v[0:1], 3, v[0:1]
	v_mov_b32_e32 v3, v5
	v_mov_b32_e32 v6, s3
	v_lshlrev_b64 v[2:3], 3, v[2:3]
	v_add_co_u32_e64 v43, s[0:1], s2, v0
	v_addc_co_u32_e64 v72, s[0:1], v6, v1, s[0:1]
	v_add_co_u32_e64 v0, s[0:1], v43, v2
	v_addc_co_u32_e64 v1, s[0:1], v72, v3, s[0:1]
	s_mul_i32 s0, s9, 0x70
	s_mul_hi_u32 s3, s8, 0x70
	s_add_i32 s3, s3, s0
	s_mul_i32 s2, s8, 0x70
	v_mov_b32_e32 v3, s3
	v_add_co_u32_e64 v2, s[0:1], s2, v0
	v_addc_co_u32_e64 v3, s[0:1], v1, v3, s[0:1]
	v_mov_b32_e32 v5, s3
	v_add_co_u32_e64 v4, s[0:1], s2, v2
	v_addc_co_u32_e64 v5, s[0:1], v3, v5, s[0:1]
	;; [unrolled: 3-line block ×3, first 2 shown]
	global_load_dwordx2 v[8:9], v[0:1], off
	global_load_dwordx2 v[10:11], v[2:3], off
	;; [unrolled: 1-line block ×4, first 2 shown]
	global_load_dwordx2 v[16:17], v76, s[12:13]
	global_load_dwordx2 v[18:19], v76, s[12:13] offset:112
	global_load_dwordx2 v[20:21], v76, s[12:13] offset:224
	;; [unrolled: 1-line block ×3, first 2 shown]
	v_mov_b32_e32 v1, s3
	v_add_co_u32_e64 v0, s[0:1], s2, v6
	v_addc_co_u32_e64 v1, s[0:1], v7, v1, s[0:1]
	global_load_dwordx2 v[2:3], v[0:1], off
	v_mov_b32_e32 v4, s3
	v_add_co_u32_e64 v0, s[0:1], s2, v0
	v_addc_co_u32_e64 v1, s[0:1], v1, v4, s[0:1]
	global_load_dwordx2 v[4:5], v[0:1], off
	v_mov_b32_e32 v6, s3
	v_add_co_u32_e64 v0, s[0:1], s2, v0
	v_addc_co_u32_e64 v1, s[0:1], v1, v6, s[0:1]
	v_mad_u64_u32 v[24:25], s[0:1], s8, v28, 0
	global_load_dwordx2 v[6:7], v[0:1], off
	v_mov_b32_e32 v26, s3
	v_add_co_u32_e64 v0, s[0:1], s2, v0
	v_addc_co_u32_e64 v1, s[0:1], v1, v26, s[0:1]
	global_load_dwordx2 v[26:27], v[0:1], off
	s_waitcnt vmcnt(0)
	v_mad_u64_u32 v[28:29], s[0:1], s9, v28, v[25:26]
	global_load_dwordx2 v[29:30], v76, s[12:13] offset:448
	global_load_dwordx2 v[31:32], v76, s[12:13] offset:560
	;; [unrolled: 1-line block ×4, first 2 shown]
	v_mov_b32_e32 v25, v28
	v_lshlrev_b64 v[24:25], 3, v[24:25]
	v_mov_b32_e32 v28, 0xe0
	v_mad_u64_u32 v[0:1], s[0:1], s8, v28, v[0:1]
	v_add_co_u32_e64 v24, s[0:1], v43, v24
	v_addc_co_u32_e64 v25, s[0:1], v72, v25, s[0:1]
	s_mul_i32 s0, s9, 0xe0
	v_add_u32_e32 v1, s0, v1
	global_load_dwordx2 v[37:38], v[0:1], off
	v_mov_b32_e32 v28, s3
	v_add_co_u32_e64 v0, s[0:1], s2, v0
	v_addc_co_u32_e64 v1, s[0:1], v1, v28, s[0:1]
	global_load_dwordx2 v[39:40], v[0:1], off
	v_add_co_u32_e64 v0, s[0:1], s2, v0
	v_addc_co_u32_e64 v1, s[0:1], v1, v28, s[0:1]
	global_load_dwordx2 v[24:25], v[24:25], off
	s_nop 0
	global_load_dwordx2 v[41:42], v[0:1], off
	global_load_dwordx2 v[45:46], v76, s[12:13] offset:896
	global_load_dwordx2 v[47:48], v76, s[12:13] offset:1008
	;; [unrolled: 1-line block ×4, first 2 shown]
	v_add_co_u32_e64 v0, s[0:1], s2, v0
	v_addc_co_u32_e64 v1, s[0:1], v1, v28, s[0:1]
	global_load_dwordx2 v[53:54], v[0:1], off
	global_load_dwordx2 v[55:56], v76, s[12:13] offset:1344
	v_add_co_u32_e64 v0, s[0:1], s2, v0
	v_addc_co_u32_e64 v1, s[0:1], v1, v28, s[0:1]
	global_load_dwordx2 v[57:58], v[0:1], off
	v_add_co_u32_e64 v0, s[0:1], s2, v0
	v_addc_co_u32_e64 v1, s[0:1], v1, v28, s[0:1]
	v_mad_u64_u32 v[61:62], s[0:1], s8, v65, 0
	global_load_dwordx2 v[59:60], v[0:1], off
	v_add_co_u32_e64 v0, s[0:1], s2, v0
	v_addc_co_u32_e64 v1, s[0:1], v1, v28, s[0:1]
	v_mov_b32_e32 v28, v62
	global_load_dwordx2 v[63:64], v76, s[12:13] offset:1456
	s_waitcnt vmcnt(16)
	v_mad_u64_u32 v[65:66], s[0:1], s9, v65, v[28:29]
	global_load_dwordx2 v[66:67], v[0:1], off
	global_load_dwordx2 v[68:69], v76, s[12:13] offset:1568
	global_load_dwordx2 v[70:71], v76, s[12:13] offset:1680
	v_lshl_add_u32 v28, v75, 3, v78
	v_mov_b32_e32 v62, v65
	v_lshlrev_b64 v[0:1], 3, v[61:62]
	v_add_co_u32_e64 v0, s[0:1], v43, v0
	v_addc_co_u32_e64 v1, s[0:1], v72, v1, s[0:1]
	global_load_dwordx2 v[61:62], v[0:1], off
	global_load_dwordx2 v[72:73], v76, s[12:13] offset:1792
	v_mul_f32_e32 v0, v9, v17
	v_mul_f32_e32 v1, v8, v17
	v_fmac_f32_e32 v0, v8, v16
	v_fma_f32 v1, v9, v16, -v1
	ds_write_b64 v28, v[0:1]
	v_mul_f32_e32 v0, v11, v19
	v_mul_f32_e32 v1, v10, v19
	;; [unrolled: 1-line block ×4, first 2 shown]
	v_fmac_f32_e32 v0, v10, v18
	v_add_u32_e32 v16, v78, v76
	v_fma_f32 v1, v11, v18, -v1
	v_fmac_f32_e32 v8, v12, v20
	v_fma_f32 v9, v13, v20, -v9
	ds_write2_b64 v16, v[0:1], v[8:9] offset0:14 offset1:28
	v_mul_f32_e32 v8, v3, v30
	v_mul_f32_e32 v0, v15, v23
	;; [unrolled: 1-line block ×3, first 2 shown]
	v_fmac_f32_e32 v8, v2, v29
	v_mul_f32_e32 v2, v2, v30
	v_fmac_f32_e32 v0, v14, v22
	v_fma_f32 v1, v15, v22, -v1
	v_fma_f32 v9, v3, v29, -v2
	ds_write2_b64 v16, v[0:1], v[8:9] offset0:42 offset1:56
	s_waitcnt vmcnt(20)
	v_mul_f32_e32 v0, v5, v32
	v_mul_f32_e32 v1, v4, v32
	s_waitcnt vmcnt(19)
	v_mul_f32_e32 v2, v7, v34
	v_mul_f32_e32 v3, v6, v34
	v_fmac_f32_e32 v0, v4, v31
	v_fma_f32 v1, v5, v31, -v1
	v_fmac_f32_e32 v2, v6, v33
	v_fma_f32 v3, v7, v33, -v3
	ds_write2_b64 v16, v[0:1], v[2:3] offset0:70 offset1:84
	s_waitcnt vmcnt(18)
	v_mul_f32_e32 v0, v27, v36
	v_mul_f32_e32 v1, v26, v36
	s_waitcnt vmcnt(13)
	v_mul_f32_e32 v2, v25, v46
	v_mul_f32_e32 v3, v24, v46
	v_fmac_f32_e32 v0, v26, v35
	v_fma_f32 v1, v27, v35, -v1
	v_fmac_f32_e32 v2, v24, v45
	;; [unrolled: 11-line block ×4, first 2 shown]
	v_fma_f32 v3, v54, v55, -v3
	ds_write2_b64 v16, v[0:1], v[2:3] offset0:154 offset1:168
	s_waitcnt vmcnt(5)
	v_mul_f32_e32 v0, v58, v64
	v_mul_f32_e32 v1, v57, v64
	v_fmac_f32_e32 v0, v57, v63
	v_fma_f32 v1, v58, v63, -v1
	s_waitcnt vmcnt(3)
	v_mul_f32_e32 v2, v60, v69
	v_mul_f32_e32 v3, v59, v69
	v_fmac_f32_e32 v2, v59, v68
	v_fma_f32 v3, v60, v68, -v3
	ds_write2_b64 v16, v[0:1], v[2:3] offset0:182 offset1:196
	s_waitcnt vmcnt(2)
	v_mul_f32_e32 v0, v67, v71
	v_mul_f32_e32 v1, v66, v71
	v_fmac_f32_e32 v0, v66, v70
	v_fma_f32 v1, v67, v70, -v1
	s_waitcnt vmcnt(0)
	v_mul_f32_e32 v2, v62, v73
	v_mul_f32_e32 v3, v61, v73
	v_fmac_f32_e32 v2, v61, v72
	v_fma_f32 v3, v62, v72, -v3
	ds_write2_b64 v16, v[0:1], v[2:3] offset0:210 offset1:224
.LBB0_3:
	s_or_b64 exec, exec, s[6:7]
	s_load_dwordx2 s[2:3], s[4:5], 0x20
	s_load_dwordx2 s[0:1], s[4:5], 0x8
	v_mov_b32_e32 v4, 0
	v_mov_b32_e32 v5, 0
	s_waitcnt lgkmcnt(0)
	; wave barrier
	s_waitcnt lgkmcnt(0)
                                        ; implicit-def: $vgpr10
                                        ; implicit-def: $vgpr32
                                        ; implicit-def: $vgpr36
                                        ; implicit-def: $vgpr30
                                        ; implicit-def: $vgpr26
                                        ; implicit-def: $vgpr22
                                        ; implicit-def: $vgpr18
                                        ; implicit-def: $vgpr14
	s_and_saveexec_b64 s[4:5], vcc
	s_cbranch_execz .LBB0_5
; %bb.4:
	v_lshl_add_u32 v0, v77, 3, v76
	ds_read2_b64 v[4:7], v0 offset1:14
	ds_read2_b64 v[12:15], v0 offset0:28 offset1:42
	ds_read2_b64 v[16:19], v0 offset0:56 offset1:70
	;; [unrolled: 1-line block ×7, first 2 shown]
	ds_read_b64 v[36:37], v0 offset:1792
.LBB0_5:
	s_or_b64 exec, exec, s[4:5]
	s_waitcnt lgkmcnt(0)
	v_sub_f32_e32 v82, v7, v37
	v_mul_f32_e32 v53, 0xbeb8f4ab, v82
	v_sub_f32_e32 v84, v13, v35
	v_add_f32_e32 v47, v36, v6
	v_sub_f32_e32 v85, v6, v36
	v_mov_b32_e32 v0, v53
	v_mul_f32_e32 v56, 0xbf2c7751, v84
	v_add_f32_e32 v48, v37, v7
	s_mov_b32 s6, 0x3f6eb680
	v_mul_f32_e32 v58, 0xbeb8f4ab, v85
	v_fmac_f32_e32 v0, 0x3f6eb680, v47
	v_add_f32_e32 v49, v34, v12
	v_sub_f32_e32 v87, v12, v34
	v_mov_b32_e32 v2, v56
	v_add_f32_e32 v0, v0, v4
	v_fma_f32 v1, v48, s6, -v58
	s_mov_b32 s7, 0x3f3d2fb0
	v_add_f32_e32 v50, v35, v13
	v_mul_f32_e32 v62, 0xbf2c7751, v87
	v_fmac_f32_e32 v2, 0x3f3d2fb0, v49
	v_sub_f32_e32 v86, v15, v33
	v_add_f32_e32 v1, v1, v5
	v_add_f32_e32 v0, v2, v0
	v_fma_f32 v2, v50, s7, -v62
	v_mul_f32_e32 v61, 0xbf65296c, v86
	v_add_f32_e32 v1, v2, v1
	v_add_f32_e32 v51, v32, v14
	v_sub_f32_e32 v89, v14, v32
	v_mov_b32_e32 v2, v61
	s_mov_b32 s8, 0x3ee437d1
	v_add_f32_e32 v52, v33, v15
	v_mul_f32_e32 v66, 0xbf65296c, v89
	v_fmac_f32_e32 v2, 0x3ee437d1, v51
	v_sub_f32_e32 v88, v17, v11
	v_add_f32_e32 v0, v2, v0
	v_fma_f32 v2, v52, s8, -v66
	v_mul_f32_e32 v65, 0xbf7ee86f, v88
	v_add_f32_e32 v1, v2, v1
	v_add_f32_e32 v54, v10, v16
	v_sub_f32_e32 v96, v16, v10
	v_mov_b32_e32 v2, v65
	s_mov_b32 s10, 0x3dbcf732
	v_add_f32_e32 v55, v11, v17
	v_mul_f32_e32 v69, 0xbf7ee86f, v96
	v_fmac_f32_e32 v2, 0x3dbcf732, v54
	v_sub_f32_e32 v94, v19, v9
	;; [unrolled: 12-line block ×5, first 2 shown]
	v_add_f32_e32 v0, v2, v0
	v_fma_f32 v2, v68, s17, -v80
	v_mul_f32_e32 v81, 0xbe3c28d5, v112
	v_add_f32_e32 v1, v2, v1
	v_add_f32_e32 v67, v26, v24
	v_mov_b32_e32 v2, v81
	v_sub_f32_e32 v114, v24, v26
	s_mov_b32 s11, 0xbf7ba420
	v_fmac_f32_e32 v2, 0xbf7ba420, v67
	v_add_f32_e32 v73, v27, v25
	v_mul_f32_e32 v83, 0xbe3c28d5, v114
	v_add_f32_e32 v45, v2, v0
	v_fma_f32 v0, v73, s11, -v83
	v_mul_f32_e32 v90, 0xbf2c7751, v82
	v_add_f32_e32 v46, v0, v1
	v_mov_b32_e32 v0, v90
	v_mul_f32_e32 v91, 0xbf7ee86f, v84
	v_fmac_f32_e32 v0, 0x3f3d2fb0, v47
	v_mov_b32_e32 v1, v91
	v_add_f32_e32 v0, v0, v4
	v_fmac_f32_e32 v1, 0x3dbcf732, v49
	v_mul_f32_e32 v101, 0xbf2c7751, v85
	v_add_f32_e32 v0, v1, v0
	v_fma_f32 v1, v48, s7, -v101
	v_mul_f32_e32 v102, 0xbf7ee86f, v87
	v_add_f32_e32 v1, v1, v5
	v_fma_f32 v2, v50, s10, -v102
	v_mul_f32_e32 v92, 0xbf4c4adb, v86
	v_add_f32_e32 v1, v2, v1
	v_mov_b32_e32 v2, v92
	v_fmac_f32_e32 v2, 0xbf1a4643, v51
	v_mul_f32_e32 v104, 0xbf4c4adb, v89
	v_add_f32_e32 v0, v2, v0
	v_fma_f32 v2, v52, s9, -v104
	v_mul_f32_e32 v93, 0xbe3c28d5, v88
	v_add_f32_e32 v1, v2, v1
	v_mov_b32_e32 v2, v93
	v_fmac_f32_e32 v2, 0xbf7ba420, v54
	;; [unrolled: 7-line block ×6, first 2 shown]
	v_mul_f32_e32 v110, 0x3eb8f4ab, v114
	v_mul_f32_e32 v115, 0xbf65296c, v82
	v_fma_f32 v3, v73, s6, -v110
	v_add_f32_e32 v2, v2, v0
	v_mov_b32_e32 v0, v115
	v_mul_f32_e32 v116, 0xbf4c4adb, v84
	v_add_f32_e32 v3, v3, v1
	v_fmac_f32_e32 v0, 0x3ee437d1, v47
	v_mov_b32_e32 v1, v116
	v_add_f32_e32 v0, v0, v4
	v_fmac_f32_e32 v1, 0xbf1a4643, v49
	v_mul_f32_e32 v117, 0x3e3c28d5, v86
	v_add_f32_e32 v0, v1, v0
	v_mov_b32_e32 v1, v117
	v_fmac_f32_e32 v1, 0xbf7ba420, v51
	v_mul_f32_e32 v118, 0x3f763a35, v88
	v_add_f32_e32 v0, v1, v0
	v_mov_b32_e32 v1, v118
	;; [unrolled: 4-line block ×6, first 2 shown]
	v_fmac_f32_e32 v1, 0xbf59a7d5, v67
	v_mul_f32_e32 v129, 0xbf65296c, v85
	v_add_f32_e32 v0, v1, v0
	v_fma_f32 v1, v48, s8, -v129
	v_mul_f32_e32 v130, 0xbf4c4adb, v87
	v_add_f32_e32 v1, v1, v5
	v_fma_f32 v38, v50, s9, -v130
	v_mul_f32_e32 v123, 0x3e3c28d5, v89
	v_add_f32_e32 v1, v38, v1
	v_fma_f32 v38, v52, s11, -v123
	v_mul_f32_e32 v124, 0x3f763a35, v96
	v_add_f32_e32 v1, v38, v1
	v_fma_f32 v38, v55, s16, -v124
	v_mul_f32_e32 v125, 0x3f2c7751, v103
	v_add_f32_e32 v1, v38, v1
	v_fma_f32 v38, v59, s7, -v125
	v_mul_f32_e32 v126, 0xbeb8f4ab, v111
	v_add_f32_e32 v1, v38, v1
	v_fma_f32 v38, v64, s6, -v126
	v_mul_f32_e32 v127, 0xbf7ee86f, v113
	v_add_f32_e32 v1, v38, v1
	v_fma_f32 v38, v68, s10, -v127
	v_mul_f32_e32 v128, 0xbf06c442, v114
	v_add_f32_e32 v1, v38, v1
	v_fma_f32 v38, v73, s17, -v128
	v_add_f32_e32 v1, v38, v1
	s_waitcnt lgkmcnt(0)
	; wave barrier
	s_and_saveexec_b64 s[4:5], vcc
	s_cbranch_execz .LBB0_7
; %bb.6:
	v_mul_f32_e32 v139, 0xbe8c1d8e, v48
	v_mov_b32_e32 v38, v139
	v_mul_f32_e32 v140, 0xbf59a7d5, v50
	v_fmac_f32_e32 v38, 0x3f763a35, v85
	v_mov_b32_e32 v39, v140
	v_add_f32_e32 v38, v38, v5
	v_fmac_f32_e32 v39, 0xbf06c442, v87
	v_mul_f32_e32 v141, 0x3f3d2fb0, v52
	v_add_f32_e32 v38, v39, v38
	v_mov_b32_e32 v39, v141
	v_fmac_f32_e32 v39, 0xbf2c7751, v89
	v_mul_f32_e32 v142, 0x3ee437d1, v55
	v_add_f32_e32 v38, v39, v38
	v_mov_b32_e32 v39, v142
	v_fmac_f32_e32 v39, 0x3f65296c, v96
	v_mul_f32_e32 v143, 0xbf7ba420, v59
	v_add_f32_e32 v38, v39, v38
	v_mov_b32_e32 v39, v143
	v_fmac_f32_e32 v39, 0x3e3c28d5, v103
	v_mul_f32_e32 v144, 0x3dbcf732, v64
	v_add_f32_e32 v38, v39, v38
	v_mov_b32_e32 v39, v144
	v_fmac_f32_e32 v39, 0xbf7ee86f, v111
	v_mul_f32_e32 v145, 0x3f6eb680, v68
	v_add_f32_e32 v38, v39, v38
	v_mov_b32_e32 v39, v145
	v_fmac_f32_e32 v39, 0x3eb8f4ab, v113
	v_mul_f32_e32 v146, 0xbf763a35, v82
	v_add_f32_e32 v38, v39, v38
	v_mov_b32_e32 v39, v146
	v_mul_f32_e32 v147, 0x3f06c442, v84
	v_fmac_f32_e32 v39, 0xbe8c1d8e, v47
	v_mov_b32_e32 v40, v147
	v_add_f32_e32 v39, v39, v4
	v_fmac_f32_e32 v40, 0xbf59a7d5, v49
	v_mul_f32_e32 v148, 0x3f2c7751, v86
	v_add_f32_e32 v39, v40, v39
	v_mov_b32_e32 v40, v148
	v_fmac_f32_e32 v40, 0x3f3d2fb0, v51
	v_mul_f32_e32 v149, 0xbf65296c, v88
	v_add_f32_e32 v39, v40, v39
	v_mov_b32_e32 v40, v149
	v_fmac_f32_e32 v40, 0x3ee437d1, v54
	v_mul_f32_e32 v150, 0xbe3c28d5, v94
	v_add_f32_e32 v39, v40, v39
	v_mov_b32_e32 v40, v150
	v_fmac_f32_e32 v40, 0xbf7ba420, v57
	v_mul_f32_e32 v151, 0x3f7ee86f, v100
	v_add_f32_e32 v39, v40, v39
	v_mov_b32_e32 v40, v151
	v_fmac_f32_e32 v40, 0x3dbcf732, v60
	v_mul_f32_e32 v152, 0xbeb8f4ab, v109
	v_add_f32_e32 v39, v40, v39
	v_mov_b32_e32 v40, v152
	v_fmac_f32_e32 v40, 0x3f6eb680, v63
	v_mul_f32_e32 v153, 0xbf1a4643, v73
	v_add_f32_e32 v40, v40, v39
	v_mov_b32_e32 v39, v153
	v_fmac_f32_e32 v39, 0x3f4c4adb, v114
	v_mul_f32_e32 v154, 0xbf4c4adb, v112
	v_add_f32_e32 v39, v39, v38
	v_mov_b32_e32 v38, v154
	v_fmac_f32_e32 v38, 0xbf1a4643, v67
	v_mul_f32_e32 v137, 0xbf1a4643, v48
	v_add_f32_e32 v38, v38, v40
	v_mov_b32_e32 v40, v137
	v_mul_f32_e32 v138, 0xbe8c1d8e, v50
	v_fmac_f32_e32 v40, 0x3f4c4adb, v85
	v_mov_b32_e32 v41, v138
	v_add_f32_e32 v40, v40, v5
	v_fmac_f32_e32 v41, 0xbf763a35, v87
	v_mul_f32_e32 v155, 0x3f6eb680, v52
	v_add_f32_e32 v40, v41, v40
	v_mov_b32_e32 v41, v155
	v_fmac_f32_e32 v41, 0x3eb8f4ab, v89
	v_mul_f32_e32 v156, 0xbf59a7d5, v55
	v_add_f32_e32 v40, v41, v40
	v_mov_b32_e32 v41, v156
	v_fmac_f32_e32 v41, 0x3f06c442, v96
	v_mul_f32_e32 v157, 0x3dbcf732, v59
	v_add_f32_e32 v40, v41, v40
	v_mov_b32_e32 v41, v157
	v_fmac_f32_e32 v41, 0xbf7ee86f, v103
	v_mul_f32_e32 v158, 0x3f3d2fb0, v64
	v_add_f32_e32 v40, v41, v40
	v_mov_b32_e32 v41, v158
	v_fmac_f32_e32 v41, 0x3f2c7751, v111
	v_mul_f32_e32 v159, 0xbf7ba420, v68
	v_add_f32_e32 v40, v41, v40
	v_mov_b32_e32 v41, v159
	v_fmac_f32_e32 v41, 0x3e3c28d5, v113
	v_mul_f32_e32 v160, 0xbf4c4adb, v82
	v_add_f32_e32 v40, v41, v40
	v_mov_b32_e32 v41, v160
	v_mul_f32_e32 v161, 0x3f763a35, v84
	v_fmac_f32_e32 v41, 0xbf1a4643, v47
	v_mov_b32_e32 v42, v161
	v_add_f32_e32 v41, v41, v4
	v_fmac_f32_e32 v42, 0xbe8c1d8e, v49
	v_mul_f32_e32 v162, 0xbeb8f4ab, v86
	v_add_f32_e32 v41, v42, v41
	v_mov_b32_e32 v42, v162
	v_fmac_f32_e32 v42, 0x3f6eb680, v51
	v_mul_f32_e32 v163, 0xbf06c442, v88
	v_add_f32_e32 v41, v42, v41
	v_mov_b32_e32 v42, v163
	v_fmac_f32_e32 v42, 0xbf59a7d5, v54
	v_mul_f32_e32 v164, 0x3f7ee86f, v94
	v_add_f32_e32 v41, v42, v41
	v_mov_b32_e32 v42, v164
	v_fmac_f32_e32 v42, 0x3dbcf732, v57
	v_mul_f32_e32 v165, 0xbf2c7751, v100
	v_add_f32_e32 v41, v42, v41
	v_mov_b32_e32 v42, v165
	v_fmac_f32_e32 v42, 0x3f3d2fb0, v60
	v_mul_f32_e32 v166, 0xbe3c28d5, v109
	v_add_f32_e32 v41, v42, v41
	v_mov_b32_e32 v42, v166
	v_fmac_f32_e32 v42, 0xbf7ba420, v63
	v_mul_f32_e32 v167, 0x3ee437d1, v73
	v_add_f32_e32 v42, v42, v41
	v_mov_b32_e32 v41, v167
	v_fmac_f32_e32 v41, 0xbf65296c, v114
	v_mul_f32_e32 v168, 0x3f65296c, v112
	v_add_f32_e32 v41, v41, v40
	v_mov_b32_e32 v40, v168
	v_fmac_f32_e32 v40, 0x3ee437d1, v67
	v_mul_f32_e32 v135, 0xbf59a7d5, v48
	v_add_f32_e32 v40, v40, v42
	;; [unrolled: 64-line block ×3, first 2 shown]
	v_mov_b32_e32 v131, v133
	v_mul_f32_e32 v134, 0x3f6eb680, v50
	v_fmac_f32_e32 v131, 0x3e3c28d5, v85
	v_mov_b32_e32 v132, v134
	v_add_f32_e32 v131, v131, v5
	v_fmac_f32_e32 v132, 0xbeb8f4ab, v87
	v_mul_f32_e32 v183, 0xbf59a7d5, v52
	v_fmac_f32_e32 v139, 0xbf763a35, v85
	v_add_f32_e32 v131, v132, v131
	v_mov_b32_e32 v132, v183
	v_add_f32_e32 v139, v139, v5
	v_fmac_f32_e32 v140, 0x3f06c442, v87
	v_fmac_f32_e32 v132, 0x3f06c442, v89
	v_mul_f32_e32 v184, 0x3f3d2fb0, v55
	v_add_f32_e32 v139, v140, v139
	v_fmac_f32_e32 v141, 0x3f2c7751, v89
	v_fma_f32 v140, v47, s16, -v146
	v_add_f32_e32 v131, v132, v131
	v_mov_b32_e32 v132, v184
	v_add_f32_e32 v139, v141, v139
	v_add_f32_e32 v140, v140, v4
	v_fma_f32 v141, v49, s17, -v147
	v_fmac_f32_e32 v132, 0xbf2c7751, v96
	v_mul_f32_e32 v185, 0xbf1a4643, v59
	v_fmac_f32_e32 v142, 0xbf65296c, v96
	v_add_f32_e32 v140, v141, v140
	v_fma_f32 v141, v51, s7, -v148
	v_add_f32_e32 v131, v132, v131
	v_mov_b32_e32 v132, v185
	v_add_f32_e32 v139, v142, v139
	v_fmac_f32_e32 v143, 0xbe3c28d5, v103
	v_add_f32_e32 v140, v141, v140
	v_fma_f32 v141, v54, s8, -v149
	v_fmac_f32_e32 v132, 0x3f4c4adb, v103
	v_mul_f32_e32 v186, 0x3ee437d1, v64
	v_add_f32_e32 v139, v143, v139
	v_fmac_f32_e32 v144, 0x3f7ee86f, v111
	v_add_f32_e32 v140, v141, v140
	v_fma_f32 v141, v57, s11, -v150
	v_add_f32_e32 v131, v132, v131
	v_mov_b32_e32 v132, v186
	v_add_f32_e32 v139, v144, v139
	v_fmac_f32_e32 v145, 0xbeb8f4ab, v113
	v_add_f32_e32 v140, v141, v140
	v_fma_f32 v141, v60, s10, -v151
	v_fmac_f32_e32 v132, 0xbf65296c, v111
	v_mul_f32_e32 v187, 0xbe8c1d8e, v68
	v_add_f32_e32 v139, v145, v139
	v_add_f32_e32 v140, v141, v140
	v_fma_f32 v141, v63, s6, -v152
	v_fmac_f32_e32 v153, 0xbf4c4adb, v114
	v_add_f32_e32 v131, v132, v131
	v_mov_b32_e32 v132, v187
	v_add_f32_e32 v141, v141, v140
	v_add_f32_e32 v140, v153, v139
	v_fma_f32 v139, v67, s9, -v154
	v_fmac_f32_e32 v132, 0x3f763a35, v113
	v_mul_f32_e32 v188, 0xbe3c28d5, v82
	v_add_f32_e32 v139, v139, v141
	v_mul_f32_e32 v141, 0xbf7ee86f, v85
	v_add_f32_e32 v131, v132, v131
	v_mov_b32_e32 v132, v188
	v_mul_f32_e32 v189, 0x3eb8f4ab, v84
	v_fmac_f32_e32 v133, 0xbe3c28d5, v85
	v_fmac_f32_e32 v135, 0xbf06c442, v85
	;; [unrolled: 1-line block ×3, first 2 shown]
	v_mov_b32_e32 v85, v141
	v_mul_f32_e32 v142, 0xbe3c28d5, v87
	v_fmac_f32_e32 v132, 0xbf7ba420, v47
	v_mov_b32_e32 v190, v189
	v_fmac_f32_e32 v134, 0x3eb8f4ab, v87
	v_fmac_f32_e32 v136, 0x3f65296c, v87
	;; [unrolled: 1-line block ×4, first 2 shown]
	v_mov_b32_e32 v87, v142
	v_add_f32_e32 v132, v132, v4
	v_fmac_f32_e32 v190, 0x3f6eb680, v49
	v_add_f32_e32 v85, v85, v5
	v_fmac_f32_e32 v87, 0xbf7ba420, v50
	v_mul_f32_e32 v143, 0x3f763a35, v89
	v_add_f32_e32 v132, v190, v132
	v_mul_f32_e32 v190, 0xbf06c442, v86
	v_add_f32_e32 v85, v87, v85
	v_mov_b32_e32 v87, v143
	v_mov_b32_e32 v191, v190
	v_fmac_f32_e32 v184, 0x3f2c7751, v96
	v_fmac_f32_e32 v170, 0x3f4c4adb, v96
	v_fmac_f32_e32 v156, 0xbf06c442, v96
	v_fmac_f32_e32 v87, 0xbe8c1d8e, v52
	v_mul_f32_e32 v96, 0x3eb8f4ab, v96
	v_fmac_f32_e32 v191, 0xbf59a7d5, v51
	v_add_f32_e32 v85, v87, v85
	v_mov_b32_e32 v87, v96
	v_add_f32_e32 v132, v191, v132
	v_mul_f32_e32 v191, 0x3f2c7751, v88
	v_fmac_f32_e32 v185, 0xbf4c4adb, v103
	v_fmac_f32_e32 v171, 0xbeb8f4ab, v103
	;; [unrolled: 1-line block ×4, first 2 shown]
	v_mul_f32_e32 v103, 0xbf65296c, v103
	v_mov_b32_e32 v192, v191
	v_add_f32_e32 v85, v87, v85
	v_mov_b32_e32 v87, v103
	v_fmac_f32_e32 v192, 0x3f3d2fb0, v54
	v_fmac_f32_e32 v186, 0x3f65296c, v111
	;; [unrolled: 1-line block ×5, first 2 shown]
	v_mul_f32_e32 v111, 0xbf06c442, v111
	v_add_f32_e32 v132, v192, v132
	v_mul_f32_e32 v192, 0xbf4c4adb, v94
	v_add_f32_e32 v85, v87, v85
	v_mov_b32_e32 v87, v111
	v_mov_b32_e32 v193, v192
	v_fmac_f32_e32 v187, 0xbf763a35, v113
	v_fmac_f32_e32 v173, 0x3f2c7751, v113
	v_fmac_f32_e32 v159, 0xbe3c28d5, v113
	v_fmac_f32_e32 v87, 0xbf59a7d5, v64
	v_mul_f32_e32 v113, 0x3f4c4adb, v113
	v_fmac_f32_e32 v193, 0xbf1a4643, v57
	v_add_f32_e32 v85, v87, v85
	v_mov_b32_e32 v87, v113
	v_add_f32_e32 v132, v193, v132
	v_mul_f32_e32 v193, 0x3f65296c, v100
	v_fmac_f32_e32 v87, 0xbf1a4643, v68
	v_mul_f32_e32 v82, 0xbf7ee86f, v82
	v_mov_b32_e32 v194, v193
	v_add_f32_e32 v85, v87, v85
	v_fma_f32 v87, v47, s10, -v82
	v_mul_f32_e32 v144, 0xbe3c28d5, v84
	v_fmac_f32_e32 v194, 0x3ee437d1, v60
	v_add_f32_e32 v87, v87, v4
	v_fma_f32 v84, v49, s11, -v144
	v_mul_f32_e32 v145, 0x3f763a35, v86
	v_add_f32_e32 v132, v194, v132
	v_mul_f32_e32 v194, 0xbf763a35, v109
	v_add_f32_e32 v84, v84, v87
	v_fma_f32 v86, v51, s16, -v145
	v_mul_f32_e32 v146, 0x3eb8f4ab, v88
	v_mov_b32_e32 v195, v194
	v_add_f32_e32 v84, v86, v84
	v_fma_f32 v86, v54, s6, -v146
	v_mul_f32_e32 v94, 0xbf65296c, v94
	v_fmac_f32_e32 v195, 0xbe8c1d8e, v63
	v_mul_f32_e32 v196, 0x3dbcf732, v73
	v_add_f32_e32 v84, v86, v84
	v_fma_f32 v86, v57, s8, -v94
	v_mul_f32_e32 v100, 0xbf06c442, v100
	v_add_f32_e32 v195, v195, v132
	v_mov_b32_e32 v132, v196
	v_add_f32_e32 v84, v86, v84
	v_fma_f32 v86, v60, s17, -v100
	v_mul_f32_e32 v109, 0x3f4c4adb, v109
	v_fmac_f32_e32 v132, 0xbf7ee86f, v114
	v_fmac_f32_e32 v196, 0x3f7ee86f, v114
	;; [unrolled: 1-line block ×4, first 2 shown]
	v_add_f32_e32 v84, v86, v84
	v_fma_f32 v86, v63, s9, -v109
	v_mul_f32_e32 v114, 0x3f2c7751, v114
	v_add_f32_e32 v84, v86, v84
	v_mov_b32_e32 v86, v114
	v_mul_f32_e32 v197, 0x3f7ee86f, v112
	v_fmac_f32_e32 v86, 0x3f3d2fb0, v73
	v_mul_f32_e32 v112, 0x3f2c7751, v112
	v_add_f32_e32 v85, v86, v85
	v_fma_f32 v86, v67, s7, -v112
	v_add_f32_e32 v84, v86, v84
	v_mul_f32_e32 v86, 0x3ee437d1, v48
	v_mul_f32_e32 v88, 0x3ee437d1, v47
	v_fmac_f32_e32 v183, 0xbf06c442, v89
	v_fmac_f32_e32 v169, 0xbf7ee86f, v89
	;; [unrolled: 1-line block ×3, first 2 shown]
	v_add_f32_e32 v86, v129, v86
	v_mul_f32_e32 v87, 0xbf1a4643, v50
	v_sub_f32_e32 v88, v88, v115
	v_mul_f32_e32 v89, 0xbf1a4643, v49
	v_add_f32_e32 v87, v130, v87
	v_add_f32_e32 v86, v86, v5
	v_sub_f32_e32 v89, v89, v116
	v_add_f32_e32 v88, v88, v4
	v_add_f32_e32 v86, v87, v86
	v_mul_f32_e32 v87, 0xbf7ba420, v52
	v_add_f32_e32 v88, v89, v88
	v_mul_f32_e32 v89, 0xbf7ba420, v51
	v_add_f32_e32 v87, v123, v87
	v_sub_f32_e32 v89, v89, v117
	v_add_f32_e32 v86, v87, v86
	v_mul_f32_e32 v87, 0xbe8c1d8e, v55
	v_add_f32_e32 v88, v89, v88
	v_mul_f32_e32 v89, 0xbe8c1d8e, v54
	v_add_f32_e32 v87, v124, v87
	v_sub_f32_e32 v89, v89, v118
	;; [unrolled: 6-line block ×6, first 2 shown]
	v_add_f32_e32 v87, v87, v86
	v_add_f32_e32 v86, v89, v88
	v_mul_f32_e32 v88, 0x3f3d2fb0, v48
	v_add_f32_e32 v88, v101, v88
	v_mul_f32_e32 v101, 0x3f3d2fb0, v47
	v_mul_f32_e32 v89, 0x3dbcf732, v50
	v_sub_f32_e32 v90, v101, v90
	v_mul_f32_e32 v101, 0x3dbcf732, v49
	v_add_f32_e32 v89, v102, v89
	v_add_f32_e32 v88, v88, v5
	v_sub_f32_e32 v91, v101, v91
	v_add_f32_e32 v90, v90, v4
	v_add_f32_e32 v88, v89, v88
	v_mul_f32_e32 v89, 0xbf1a4643, v52
	v_add_f32_e32 v90, v91, v90
	v_mul_f32_e32 v91, 0xbf1a4643, v51
	v_add_f32_e32 v6, v6, v4
	v_add_f32_e32 v89, v104, v89
	v_sub_f32_e32 v91, v91, v92
	v_add_f32_e32 v6, v12, v6
	v_add_f32_e32 v88, v89, v88
	v_mul_f32_e32 v89, 0xbf7ba420, v55
	v_add_f32_e32 v90, v91, v90
	;; [unrolled: 8-line block ×3, first 2 shown]
	v_mul_f32_e32 v91, 0xbf59a7d5, v57
	v_add_f32_e32 v6, v18, v6
	v_add_f32_e32 v89, v106, v89
	v_sub_f32_e32 v91, v91, v95
	v_add_f32_e32 v7, v7, v5
	v_add_f32_e32 v6, v20, v6
	;; [unrolled: 1-line block ×3, first 2 shown]
	v_mul_f32_e32 v89, 0xbe8c1d8e, v64
	v_add_f32_e32 v90, v91, v90
	v_mul_f32_e32 v91, 0xbe8c1d8e, v60
	v_add_f32_e32 v7, v13, v7
	v_add_f32_e32 v6, v22, v6
	;; [unrolled: 1-line block ×3, first 2 shown]
	v_sub_f32_e32 v91, v91, v97
	v_add_f32_e32 v7, v15, v7
	v_add_f32_e32 v6, v24, v6
	;; [unrolled: 1-line block ×3, first 2 shown]
	v_mul_f32_e32 v89, 0x3ee437d1, v68
	v_add_f32_e32 v90, v91, v90
	v_mul_f32_e32 v91, 0x3ee437d1, v63
	v_add_f32_e32 v7, v17, v7
	v_add_f32_e32 v6, v26, v6
	;; [unrolled: 1-line block ×3, first 2 shown]
	v_sub_f32_e32 v91, v91, v98
	v_add_f32_e32 v7, v19, v7
	v_add_f32_e32 v6, v28, v6
	;; [unrolled: 1-line block ×3, first 2 shown]
	v_mul_f32_e32 v89, 0x3f6eb680, v73
	v_mul_f32_e32 v93, 0x3f6eb680, v48
	v_add_f32_e32 v90, v91, v90
	v_mul_f32_e32 v91, 0x3f6eb680, v67
	v_add_f32_e32 v7, v21, v7
	v_add_f32_e32 v6, v30, v6
	;; [unrolled: 1-line block ×3, first 2 shown]
	v_mul_f32_e32 v92, 0x3f6eb680, v47
	v_sub_f32_e32 v91, v91, v99
	v_add_f32_e32 v58, v58, v93
	v_add_f32_e32 v7, v23, v7
	;; [unrolled: 1-line block ×3, first 2 shown]
	v_fma_f32 v8, v48, s10, -v141
	v_add_f32_e32 v133, v133, v5
	v_add_f32_e32 v135, v135, v5
	;; [unrolled: 1-line block ×3, first 2 shown]
	v_mul_f32_e32 v95, 0x3f3d2fb0, v49
	v_add_f32_e32 v89, v89, v88
	v_add_f32_e32 v88, v91, v90
	v_mul_f32_e32 v90, 0x3f3d2fb0, v50
	v_add_f32_e32 v58, v58, v5
	v_sub_f32_e32 v53, v92, v53
	v_add_f32_e32 v7, v25, v7
	v_add_f32_e32 v5, v8, v5
	v_fma_f32 v8, v50, s11, -v142
	v_add_f32_e32 v133, v134, v133
	v_fma_f32 v134, v47, s11, -v188
	;; [unrolled: 2-line block ×4, first 2 shown]
	v_mul_f32_e32 v91, 0x3ee437d1, v51
	v_mul_f32_e32 v93, 0x3ee437d1, v52
	v_add_f32_e32 v62, v62, v90
	v_add_f32_e32 v53, v53, v4
	v_sub_f32_e32 v56, v95, v56
	v_add_f32_e32 v7, v27, v7
	v_add_f32_e32 v5, v8, v5
	v_fma_f32 v8, v52, s16, -v143
	v_fmac_f32_e32 v82, 0x3dbcf732, v47
	v_add_f32_e32 v133, v183, v133
	v_add_f32_e32 v134, v134, v4
	v_fma_f32 v183, v49, s6, -v189
	v_add_f32_e32 v135, v169, v135
	v_add_f32_e32 v136, v136, v4
	v_fma_f32 v169, v49, s8, -v175
	;; [unrolled: 3-line block ×3, first 2 shown]
	v_mul_f32_e32 v90, 0x3dbcf732, v54
	v_add_f32_e32 v58, v62, v58
	v_mul_f32_e32 v62, 0x3dbcf732, v55
	v_add_f32_e32 v66, v66, v93
	v_add_f32_e32 v53, v56, v53
	v_sub_f32_e32 v56, v91, v61
	v_add_f32_e32 v7, v29, v7
	v_add_f32_e32 v5, v8, v5
	v_fma_f32 v8, v55, s6, -v96
	v_add_f32_e32 v4, v82, v4
	v_fmac_f32_e32 v144, 0xbf7ba420, v49
	v_add_f32_e32 v134, v183, v134
	v_fma_f32 v183, v51, s17, -v190
	v_add_f32_e32 v136, v169, v136
	v_fma_f32 v169, v51, s10, -v176
	;; [unrolled: 2-line block ×3, first 2 shown]
	v_mul_f32_e32 v93, 0xbe8c1d8e, v57
	v_add_f32_e32 v58, v66, v58
	v_mul_f32_e32 v66, 0xbe8c1d8e, v59
	v_add_f32_e32 v62, v69, v62
	v_add_f32_e32 v53, v56, v53
	v_sub_f32_e32 v56, v90, v65
	v_add_f32_e32 v7, v31, v7
	v_add_f32_e32 v5, v8, v5
	v_fma_f32 v8, v59, s8, -v103
	v_add_f32_e32 v4, v144, v4
	v_fmac_f32_e32 v145, 0xbe8c1d8e, v51
	v_add_f32_e32 v133, v184, v133
	v_add_f32_e32 v134, v183, v134
	v_fma_f32 v183, v54, s7, -v191
	v_add_f32_e32 v135, v170, v135
	v_add_f32_e32 v136, v169, v136
	v_fma_f32 v169, v54, s9, -v177
	;; [unrolled: 3-line block ×3, first 2 shown]
	v_mul_f32_e32 v69, 0xbf1a4643, v60
	v_add_f32_e32 v58, v62, v58
	v_mul_f32_e32 v62, 0xbf1a4643, v64
	v_add_f32_e32 v66, v71, v66
	v_add_f32_e32 v53, v56, v53
	v_sub_f32_e32 v56, v93, v70
	v_add_f32_e32 v7, v9, v7
	v_add_f32_e32 v5, v8, v5
	v_fma_f32 v8, v64, s17, -v111
	v_add_f32_e32 v4, v145, v4
	v_fmac_f32_e32 v146, 0x3f6eb680, v54
	v_add_f32_e32 v133, v185, v133
	v_add_f32_e32 v134, v183, v134
	v_fma_f32 v183, v57, s9, -v192
	v_add_f32_e32 v135, v171, v135
	v_add_f32_e32 v136, v169, v136
	v_fma_f32 v169, v57, s6, -v178
	;; [unrolled: 3-line block ×3, first 2 shown]
	v_mul_f32_e32 v71, 0xbf59a7d5, v63
	v_add_f32_e32 v58, v66, v58
	v_mul_f32_e32 v66, 0xbf59a7d5, v68
	v_add_f32_e32 v62, v74, v62
	v_add_f32_e32 v53, v56, v53
	v_sub_f32_e32 v56, v69, v72
	v_add_f32_e32 v7, v11, v7
	v_add_f32_e32 v6, v10, v6
	;; [unrolled: 1-line block ×3, first 2 shown]
	v_fma_f32 v8, v68, s9, -v113
	v_add_f32_e32 v4, v146, v4
	v_fmac_f32_e32 v94, 0x3ee437d1, v57
	v_add_f32_e32 v133, v186, v133
	v_add_f32_e32 v134, v183, v134
	v_fma_f32 v183, v60, s8, -v193
	v_add_f32_e32 v135, v172, v135
	v_add_f32_e32 v136, v169, v136
	v_fma_f32 v169, v60, s11, -v179
	;; [unrolled: 3-line block ×3, first 2 shown]
	v_mul_f32_e32 v74, 0xbf7ba420, v67
	v_add_f32_e32 v58, v62, v58
	v_mul_f32_e32 v62, 0xbf7ba420, v73
	v_add_f32_e32 v66, v80, v66
	v_add_f32_e32 v53, v56, v53
	v_sub_f32_e32 v56, v71, v79
	v_add_f32_e32 v7, v33, v7
	v_add_f32_e32 v6, v32, v6
	;; [unrolled: 1-line block ×3, first 2 shown]
	v_fma_f32 v8, v73, s7, -v114
	v_add_f32_e32 v4, v94, v4
	v_fmac_f32_e32 v100, 0xbf59a7d5, v60
	v_add_f32_e32 v132, v132, v131
	v_mov_b32_e32 v131, v197
	v_add_f32_e32 v133, v187, v133
	v_add_f32_e32 v134, v183, v134
	v_fma_f32 v183, v63, s16, -v194
	v_add_f32_e32 v135, v173, v135
	v_add_f32_e32 v136, v169, v136
	v_fma_f32 v169, v63, s7, -v180
	;; [unrolled: 3-line block ×3, first 2 shown]
	v_add_f32_e32 v58, v66, v58
	v_add_f32_e32 v62, v83, v62
	;; [unrolled: 1-line block ×3, first 2 shown]
	v_sub_f32_e32 v56, v74, v81
	v_add_f32_e32 v7, v35, v7
	v_add_f32_e32 v6, v34, v6
	;; [unrolled: 1-line block ×4, first 2 shown]
	v_fmac_f32_e32 v109, 0xbf1a4643, v63
	v_mul_lo_u16_e32 v8, 17, v75
	v_fmac_f32_e32 v131, 0x3dbcf732, v67
	v_add_f32_e32 v183, v183, v134
	v_add_f32_e32 v134, v196, v133
	v_fma_f32 v133, v67, s10, -v197
	v_add_f32_e32 v169, v169, v136
	v_add_f32_e32 v136, v181, v135
	v_fma_f32 v135, v67, s16, -v182
	;; [unrolled: 3-line block ×3, first 2 shown]
	v_add_f32_e32 v62, v62, v58
	v_add_f32_e32 v61, v56, v53
	v_add_f32_e32 v7, v37, v7
	v_add_f32_e32 v6, v36, v6
	v_add_f32_e32 v4, v109, v4
	v_fmac_f32_e32 v112, 0x3f3d2fb0, v67
	v_add_lshl_u32 v8, v77, v8, 3
	v_add_f32_e32 v131, v131, v195
	v_add_f32_e32 v133, v133, v183
	;; [unrolled: 1-line block ×5, first 2 shown]
	ds_write2_b64 v8, v[6:7], v[61:62] offset1:1
	ds_write2_b64 v8, v[88:89], v[86:87] offset0:2 offset1:3
	ds_write2_b64 v8, v[84:85], v[139:140] offset0:4 offset1:5
	ds_write2_b64 v8, v[137:138], v[135:136] offset0:6 offset1:7
	ds_write2_b64 v8, v[133:134], v[131:132] offset0:8 offset1:9
	ds_write2_b64 v8, v[42:43], v[40:41] offset0:10 offset1:11
	ds_write2_b64 v8, v[38:39], v[4:5] offset0:12 offset1:13
	ds_write2_b64 v8, v[0:1], v[2:3] offset0:14 offset1:15
	ds_write_b64 v8, v[45:46] offset:128
.LBB0_7:
	s_or_b64 exec, exec, s[4:5]
	v_mul_u32_u24_e32 v4, 6, v75
	v_lshlrev_b32_e32 v47, 3, v4
	s_load_dwordx4 s[4:7], s[2:3], 0x0
	s_waitcnt lgkmcnt(0)
	; wave barrier
	s_waitcnt lgkmcnt(0)
	global_load_dwordx4 v[12:15], v47, s[0:1]
	global_load_dwordx4 v[8:11], v47, s[0:1] offset:16
	global_load_dwordx4 v[4:7], v47, s[0:1] offset:32
	v_add_lshl_u32 v79, v77, v75, 3
	ds_read2_b64 v[16:19], v79 offset1:17
	ds_read2_b64 v[20:23], v79 offset0:34 offset1:51
	ds_read2_b64 v[24:27], v79 offset0:68 offset1:85
	;; [unrolled: 1-line block ×6, first 2 shown]
	v_mov_b32_e32 v48, s1
	v_add_co_u32_e64 v47, s[0:1], s0, v47
	v_addc_co_u32_e64 v48, s[0:1], 0, v48, s[0:1]
	s_mov_b32 s0, 0x3f5ff5aa
	s_mov_b32 s1, 0x3f3bfb3b
	;; [unrolled: 1-line block ×4, first 2 shown]
	s_waitcnt lgkmcnt(0)
	; wave barrier
	s_waitcnt lgkmcnt(0)
	v_lshl_add_u32 v80, v75, 3, v78
	s_waitcnt vmcnt(2)
	v_mul_f32_e32 v49, v21, v13
	v_mul_f32_e32 v50, v20, v13
	;; [unrolled: 1-line block ×3, first 2 shown]
	s_waitcnt vmcnt(1)
	v_mul_f32_e32 v53, v29, v9
	v_mul_f32_e32 v54, v28, v9
	s_waitcnt vmcnt(0)
	v_mul_f32_e32 v57, v37, v5
	v_mul_f32_e32 v59, v41, v7
	;; [unrolled: 1-line block ×8, first 2 shown]
	v_fma_f32 v20, v20, v12, -v49
	v_fmac_f32_e32 v50, v21, v12
	v_fma_f32 v21, v24, v14, -v51
	v_fma_f32 v24, v28, v8, -v53
	v_fmac_f32_e32 v54, v29, v8
	v_fma_f32 v28, v36, v4, -v57
	v_fma_f32 v29, v40, v6, -v59
	v_mul_f32_e32 v56, v32, v11
	v_mul_f32_e32 v62, v22, v13
	;; [unrolled: 1-line block ×6, first 2 shown]
	v_fmac_f32_e32 v52, v25, v14
	v_fma_f32 v25, v32, v10, -v55
	v_fmac_f32_e32 v58, v37, v4
	v_fmac_f32_e32 v60, v41, v6
	v_fma_f32 v32, v22, v12, -v61
	v_fmac_f32_e32 v64, v27, v14
	v_add_f32_e32 v22, v20, v29
	v_add_f32_e32 v27, v21, v28
	v_mul_f32_e32 v66, v30, v9
	v_mul_f32_e32 v67, v35, v11
	;; [unrolled: 1-line block ×3, first 2 shown]
	v_fmac_f32_e32 v56, v33, v10
	v_fmac_f32_e32 v62, v23, v12
	v_fma_f32 v36, v30, v8, -v65
	v_fmac_f32_e32 v68, v35, v10
	v_fma_f32 v35, v38, v4, -v69
	v_add_f32_e32 v23, v50, v60
	v_sub_f32_e32 v20, v20, v29
	v_add_f32_e32 v29, v52, v58
	v_add_f32_e32 v30, v24, v25
	;; [unrolled: 1-line block ×3, first 2 shown]
	v_fmac_f32_e32 v66, v31, v8
	v_fmac_f32_e32 v70, v39, v4
	v_add_f32_e32 v31, v54, v56
	v_add_f32_e32 v39, v29, v23
	v_sub_f32_e32 v40, v27, v22
	v_sub_f32_e32 v22, v22, v30
	;; [unrolled: 1-line block ×3, first 2 shown]
	v_add_f32_e32 v30, v30, v38
	v_mul_f32_e32 v71, v43, v7
	v_sub_f32_e32 v21, v21, v28
	v_sub_f32_e32 v24, v25, v24
	;; [unrolled: 1-line block ×5, first 2 shown]
	v_add_f32_e32 v31, v31, v39
	v_add_f32_e32 v16, v16, v30
	v_mul_f32_e32 v72, v42, v7
	v_fma_f32 v33, v26, v14, -v63
	v_fma_f32 v37, v42, v6, -v71
	v_sub_f32_e32 v26, v50, v60
	v_sub_f32_e32 v28, v52, v58
	;; [unrolled: 1-line block ×3, first 2 shown]
	v_add_f32_e32 v42, v24, v21
	v_sub_f32_e32 v49, v24, v21
	v_sub_f32_e32 v21, v21, v20
	v_add_f32_e32 v17, v17, v31
	v_mov_b32_e32 v51, v16
	v_fmac_f32_e32 v72, v43, v6
	v_add_f32_e32 v43, v25, v28
	v_sub_f32_e32 v50, v25, v28
	v_sub_f32_e32 v24, v20, v24
	v_sub_f32_e32 v28, v28, v26
	v_add_f32_e32 v20, v42, v20
	v_mul_f32_e32 v22, 0x3f4a47b2, v22
	v_mul_f32_e32 v23, 0x3f4a47b2, v23
	;; [unrolled: 1-line block ×6, first 2 shown]
	v_fmac_f32_e32 v51, 0xbf955555, v30
	v_mov_b32_e32 v30, v17
	v_sub_f32_e32 v25, v26, v25
	v_add_f32_e32 v26, v43, v26
	v_mul_f32_e32 v43, 0xbf08b237, v50
	v_mul_f32_e32 v50, 0x3f5ff5aa, v28
	v_fmac_f32_e32 v30, 0xbf955555, v31
	v_fma_f32 v31, v40, s1, -v38
	v_fma_f32 v38, v41, s1, -v39
	;; [unrolled: 1-line block ×3, first 2 shown]
	v_fmac_f32_e32 v22, 0x3d64c772, v27
	v_fma_f32 v27, v41, s2, -v23
	v_fmac_f32_e32 v23, 0x3d64c772, v29
	v_fma_f32 v29, v21, s0, -v42
	v_fma_f32 v40, v24, s3, -v49
	v_fmac_f32_e32 v42, 0x3eae86e6, v24
	v_fma_f32 v28, v28, s0, -v43
	v_fmac_f32_e32 v43, 0x3eae86e6, v25
	v_fma_f32 v41, v25, s3, -v50
	v_add_f32_e32 v50, v23, v30
	v_add_f32_e32 v38, v38, v30
	v_add_f32_e32 v30, v27, v30
	v_fmac_f32_e32 v29, 0x3ee1c552, v20
	v_fmac_f32_e32 v40, 0x3ee1c552, v20
	v_fma_f32 v34, v34, v10, -v67
	v_add_f32_e32 v49, v22, v51
	v_add_f32_e32 v31, v31, v51
	;; [unrolled: 1-line block ×3, first 2 shown]
	v_fmac_f32_e32 v42, 0x3ee1c552, v20
	v_fmac_f32_e32 v43, 0x3ee1c552, v26
	;; [unrolled: 1-line block ×4, first 2 shown]
	v_sub_f32_e32 v23, v30, v40
	v_add_f32_e32 v25, v29, v38
	v_sub_f32_e32 v27, v38, v29
	v_add_f32_e32 v29, v40, v30
	v_add_f32_e32 v38, v32, v37
	;; [unrolled: 1-line block ×4, first 2 shown]
	v_sub_f32_e32 v21, v50, v42
	v_add_f32_e32 v22, v41, v39
	v_sub_f32_e32 v24, v31, v28
	v_add_f32_e32 v26, v28, v31
	v_sub_f32_e32 v28, v39, v41
	v_sub_f32_e32 v30, v49, v43
	v_add_f32_e32 v31, v42, v50
	v_add_f32_e32 v39, v62, v72
	;; [unrolled: 1-line block ×7, first 2 shown]
	v_sub_f32_e32 v51, v40, v38
	v_sub_f32_e32 v38, v38, v42
	;; [unrolled: 1-line block ×3, first 2 shown]
	v_add_f32_e32 v42, v42, v49
	v_sub_f32_e32 v32, v32, v37
	v_sub_f32_e32 v37, v62, v72
	;; [unrolled: 1-line block ×9, first 2 shown]
	v_add_f32_e32 v43, v43, v50
	v_add_f32_e32 v18, v18, v42
	;; [unrolled: 1-line block ×4, first 2 shown]
	v_sub_f32_e32 v55, v34, v33
	v_sub_f32_e32 v56, v36, v35
	;; [unrolled: 1-line block ×4, first 2 shown]
	v_add_f32_e32 v19, v19, v43
	v_mov_b32_e32 v57, v18
	v_sub_f32_e32 v34, v32, v34
	v_sub_f32_e32 v36, v37, v36
	v_add_f32_e32 v32, v53, v32
	v_add_f32_e32 v37, v54, v37
	v_mul_f32_e32 v38, 0x3f4a47b2, v38
	v_mul_f32_e32 v39, 0x3f4a47b2, v39
	;; [unrolled: 1-line block ×8, first 2 shown]
	v_fmac_f32_e32 v57, 0xbf955555, v42
	v_mov_b32_e32 v42, v19
	v_fmac_f32_e32 v42, 0xbf955555, v43
	v_fma_f32 v43, v51, s1, -v49
	v_fma_f32 v49, v52, s1, -v50
	v_fma_f32 v50, v51, s2, -v38
	v_fmac_f32_e32 v38, 0x3d64c772, v40
	v_fma_f32 v40, v52, s2, -v39
	v_fmac_f32_e32 v39, 0x3d64c772, v41
	v_fma_f32 v41, v33, s0, -v53
	;; [unrolled: 2-line block ×4, first 2 shown]
	v_fma_f32 v55, v36, s3, -v56
	v_add_f32_e32 v56, v38, v57
	v_add_f32_e32 v58, v39, v42
	;; [unrolled: 1-line block ×6, first 2 shown]
	v_fmac_f32_e32 v53, 0x3ee1c552, v32
	v_fmac_f32_e32 v54, 0x3ee1c552, v37
	;; [unrolled: 1-line block ×6, first 2 shown]
	v_add_f32_e32 v32, v54, v56
	v_sub_f32_e32 v33, v58, v53
	v_add_f32_e32 v34, v55, v43
	v_sub_f32_e32 v35, v42, v52
	v_sub_f32_e32 v36, v38, v51
	v_add_f32_e32 v37, v41, v39
	v_add_f32_e32 v38, v51, v38
	v_sub_f32_e32 v39, v39, v41
	v_sub_f32_e32 v40, v43, v55
	v_add_f32_e32 v41, v52, v42
	v_sub_f32_e32 v42, v56, v54
	v_add_f32_e32 v43, v53, v58
	ds_write2_b64 v79, v[16:17], v[20:21] offset1:17
	ds_write2_b64 v79, v[22:23], v[24:25] offset0:34 offset1:51
	ds_write2_b64 v79, v[26:27], v[28:29] offset0:68 offset1:85
	;; [unrolled: 1-line block ×6, first 2 shown]
	v_mul_i32_i24_e32 v16, 0xffffffd8, v75
	v_mul_hi_i32_i24_e32 v17, 0xffffffd8, v75
	v_add_co_u32_e64 v16, s[0:1], v47, v16
	v_addc_co_u32_e64 v17, s[0:1], v48, v17, s[0:1]
	s_waitcnt lgkmcnt(0)
	; wave barrier
	s_waitcnt lgkmcnt(0)
	global_load_dwordx2 v[47:48], v[16:17], off offset:816
	global_load_dwordx2 v[49:50], v[16:17], off offset:952
	global_load_dwordx2 v[51:52], v[16:17], off offset:1088
	global_load_dwordx2 v[53:54], v[16:17], off offset:1224
	global_load_dwordx2 v[55:56], v[16:17], off offset:1360
	global_load_dwordx2 v[57:58], v[16:17], off offset:1496
	global_load_dwordx2 v[59:60], v[16:17], off offset:1632
	ds_read2_b64 v[22:25], v79 offset1:17
	ds_read2_b64 v[40:43], v79 offset0:102 offset1:119
	ds_read2_b64 v[16:19], v79 offset0:136 offset1:153
	;; [unrolled: 1-line block ×6, first 2 shown]
	s_waitcnt vmcnt(6) lgkmcnt(5)
	v_mul_f32_e32 v20, v43, v48
	s_waitcnt vmcnt(5) lgkmcnt(4)
	v_mul_f32_e32 v38, v17, v50
	v_fma_f32 v38, v16, v49, -v38
	v_mul_f32_e32 v39, v16, v50
	s_waitcnt vmcnt(4)
	v_mul_f32_e32 v16, v19, v52
	v_fma_f32 v20, v42, v47, -v20
	v_mul_f32_e32 v21, v42, v48
	v_fma_f32 v42, v18, v51, -v16
	s_waitcnt vmcnt(3) lgkmcnt(2)
	v_mul_f32_e32 v16, v27, v54
	v_fma_f32 v65, v26, v53, -v16
	s_waitcnt vmcnt(2)
	v_mul_f32_e32 v16, v29, v56
	v_fmac_f32_e32 v21, v43, v47
	v_mul_f32_e32 v43, v18, v52
	v_fma_f32 v67, v28, v55, -v16
	s_waitcnt vmcnt(1) lgkmcnt(0)
	v_mul_f32_e32 v16, v35, v58
	v_fmac_f32_e32 v39, v17, v49
	v_fmac_f32_e32 v43, v19, v51
	v_mul_f32_e32 v66, v26, v54
	v_mul_f32_e32 v68, v28, v56
	v_fma_f32 v69, v34, v57, -v16
	v_mul_f32_e32 v70, v34, v58
	s_waitcnt vmcnt(0)
	v_mul_f32_e32 v16, v37, v60
	v_mul_f32_e32 v72, v36, v60
	v_sub_f32_e32 v18, v22, v20
	v_sub_f32_e32 v19, v23, v21
	v_fmac_f32_e32 v66, v27, v53
	v_fmac_f32_e32 v68, v29, v55
	v_fmac_f32_e32 v70, v35, v57
	v_fma_f32 v71, v36, v59, -v16
	v_fmac_f32_e32 v72, v37, v59
	v_fma_f32 v16, v22, 2.0, -v18
	v_fma_f32 v17, v23, 2.0, -v19
	v_sub_f32_e32 v22, v24, v38
	v_sub_f32_e32 v23, v25, v39
	;; [unrolled: 1-line block ×4, first 2 shown]
	v_fma_f32 v20, v24, 2.0, -v22
	v_fma_f32 v21, v25, 2.0, -v23
	;; [unrolled: 1-line block ×4, first 2 shown]
	v_sub_f32_e32 v30, v32, v65
	v_sub_f32_e32 v31, v33, v66
	;; [unrolled: 1-line block ×8, first 2 shown]
	v_fma_f32 v28, v32, 2.0, -v30
	v_fma_f32 v29, v33, 2.0, -v31
	;; [unrolled: 1-line block ×8, first 2 shown]
	v_add_u32_e32 v61, v76, v78
	ds_write2_b64 v80, v[16:17], v[20:21] offset1:17
	ds_write2_b64 v80, v[18:19], v[22:23] offset0:119 offset1:136
	ds_write_b64 v80, v[24:25] offset:272
	ds_write_b64 v61, v[26:27] offset:1224
	;; [unrolled: 1-line block ×10, first 2 shown]
	s_waitcnt lgkmcnt(0)
	; wave barrier
	s_waitcnt lgkmcnt(0)
	s_and_saveexec_b64 s[0:1], vcc
	s_cbranch_execz .LBB0_9
; %bb.8:
	global_load_dwordx2 v[97:98], v76, s[12:13] offset:1904
	s_add_u32 s2, s12, 0x770
	s_addc_u32 s3, s13, 0
	global_load_dwordx2 v[99:100], v76, s[2:3] offset:112
	global_load_dwordx2 v[101:102], v76, s[2:3] offset:224
	;; [unrolled: 1-line block ×15, first 2 shown]
	ds_read2_b64 v[62:65], v80 offset1:14
	ds_read2_b64 v[66:69], v80 offset0:28 offset1:42
	global_load_dwordx2 v[129:130], v76, s[2:3] offset:1792
	ds_read2_b64 v[70:73], v80 offset0:56 offset1:70
	ds_read2_b64 v[81:84], v80 offset0:84 offset1:98
	;; [unrolled: 1-line block ×5, first 2 shown]
	s_waitcnt vmcnt(13) lgkmcnt(5)
	v_mul_f32_e32 v133, v69, v104
	s_waitcnt vmcnt(12) lgkmcnt(4)
	v_mul_f32_e32 v134, v71, v106
	s_waitcnt vmcnt(11)
	v_mul_f32_e32 v135, v73, v108
	s_waitcnt vmcnt(10) lgkmcnt(3)
	v_mul_f32_e32 v136, v82, v110
	s_waitcnt vmcnt(9)
	;; [unrolled: 4-line block ×3, first 2 shown]
	v_mul_f32_e32 v139, v88, v116
	s_waitcnt vmcnt(6) lgkmcnt(1)
	v_mul_f32_e32 v140, v90, v118
	v_mul_f32_e32 v74, v63, v98
	;; [unrolled: 1-line block ×3, first 2 shown]
	v_fma_f32 v131, v62, v97, -v74
	v_fmac_f32_e32 v132, v63, v97
	v_mul_f32_e32 v62, v65, v100
	v_mul_f32_e32 v63, v64, v100
	;; [unrolled: 1-line block ×12, first 2 shown]
	s_waitcnt vmcnt(5)
	v_mul_f32_e32 v118, v92, v120
	v_mul_f32_e32 v114, v91, v120
	v_fma_f32 v62, v64, v99, -v62
	v_fmac_f32_e32 v63, v65, v99
	v_fma_f32 v97, v66, v101, -v97
	v_fmac_f32_e32 v98, v67, v101
	;; [unrolled: 2-line block ×11, first 2 shown]
	ds_write2_b64 v80, v[131:132], v[62:63] offset1:14
	ds_write2_b64 v80, v[97:98], v[99:100] offset0:28 offset1:42
	ds_write2_b64 v80, v[101:102], v[103:104] offset0:56 offset1:70
	;; [unrolled: 1-line block ×5, first 2 shown]
	ds_read2_b64 v[62:65], v80 offset0:196 offset1:210
	s_waitcnt vmcnt(4) lgkmcnt(7)
	v_mul_f32_e32 v120, v94, v122
	v_mul_f32_e32 v116, v93, v122
	s_waitcnt vmcnt(3)
	v_mul_f32_e32 v122, v96, v124
	v_mul_f32_e32 v67, v95, v124
	v_fma_f32 v115, v93, v121, -v120
	v_fmac_f32_e32 v116, v94, v121
	v_fma_f32 v66, v95, v123, -v122
	v_fmac_f32_e32 v67, v96, v123
	ds_write2_b64 v80, v[115:116], v[66:67] offset0:168 offset1:182
	s_waitcnt vmcnt(2) lgkmcnt(1)
	v_mul_f32_e32 v66, v63, v126
	v_mul_f32_e32 v67, v62, v126
	v_fma_f32 v66, v62, v125, -v66
	v_fmac_f32_e32 v67, v63, v125
	ds_read_b64 v[62:63], v80 offset:1792
	s_waitcnt vmcnt(1)
	v_mul_f32_e32 v68, v65, v128
	v_mul_f32_e32 v69, v64, v128
	v_fma_f32 v68, v64, v127, -v68
	v_fmac_f32_e32 v69, v65, v127
	s_waitcnt vmcnt(0) lgkmcnt(0)
	v_mul_f32_e32 v64, v63, v130
	v_mul_f32_e32 v65, v62, v130
	v_fma_f32 v64, v62, v129, -v64
	v_fmac_f32_e32 v65, v63, v129
	ds_write2_b64 v80, v[66:67], v[68:69] offset0:196 offset1:210
	ds_write_b64 v80, v[64:65] offset:1792
.LBB0_9:
	s_or_b64 exec, exec, s[0:1]
	s_waitcnt lgkmcnt(0)
	; wave barrier
	s_waitcnt lgkmcnt(0)
	s_and_saveexec_b64 s[0:1], vcc
	s_cbranch_execz .LBB0_11
; %bb.10:
	ds_read2_b64 v[16:19], v80 offset1:14
	ds_read2_b64 v[20:23], v80 offset0:28 offset1:42
	ds_read2_b64 v[24:27], v80 offset0:56 offset1:70
	;; [unrolled: 1-line block ×7, first 2 shown]
	ds_read_b64 v[45:46], v80 offset:1792
.LBB0_11:
	s_or_b64 exec, exec, s[0:1]
	v_add_u32_e32 v85, 0x110, v61
	v_add_u32_e32 v84, 0x198, v61
	;; [unrolled: 1-line block ×5, first 2 shown]
	s_waitcnt lgkmcnt(0)
	; wave barrier
	s_waitcnt lgkmcnt(0)
	s_and_saveexec_b64 s[0:1], vcc
	s_cbranch_execz .LBB0_13
; %bb.12:
	v_sub_f32_e32 v86, v18, v45
	v_mul_f32_e32 v118, 0xbf763a35, v86
	v_sub_f32_e32 v87, v20, v2
	v_add_f32_e32 v102, v46, v19
	v_mov_b32_e32 v61, v118
	v_mul_f32_e32 v119, 0x3f06c442, v87
	v_fmac_f32_e32 v61, 0xbe8c1d8e, v102
	v_add_f32_e32 v103, v3, v21
	v_mov_b32_e32 v62, v119
	v_sub_f32_e32 v88, v22, v0
	v_add_f32_e32 v61, v17, v61
	v_fmac_f32_e32 v62, 0xbf59a7d5, v103
	v_mul_f32_e32 v120, 0x3f2c7751, v88
	v_add_f32_e32 v61, v62, v61
	v_add_f32_e32 v104, v1, v23
	v_mov_b32_e32 v62, v120
	v_sub_f32_e32 v89, v24, v42
	v_fmac_f32_e32 v62, 0x3f3d2fb0, v104
	v_mul_f32_e32 v121, 0xbf65296c, v89
	v_add_f32_e32 v61, v62, v61
	v_add_f32_e32 v105, v43, v25
	v_mov_b32_e32 v62, v121
	v_sub_f32_e32 v90, v26, v40
	v_fmac_f32_e32 v62, 0x3ee437d1, v105
	v_mul_f32_e32 v122, 0xbe3c28d5, v90
	s_mov_b32 s2, 0xbe8c1d8e
	v_add_f32_e32 v61, v62, v61
	v_add_f32_e32 v106, v41, v27
	v_mov_b32_e32 v62, v122
	v_sub_f32_e32 v91, v28, v38
	s_mov_b32 s3, 0xbf59a7d5
	v_fmac_f32_e32 v62, 0xbf7ba420, v106
	v_mul_f32_e32 v123, 0x3f7ee86f, v91
	v_fma_f32 v118, v102, s2, -v118
	s_mov_b32 s8, 0x3f3d2fb0
	v_add_f32_e32 v61, v62, v61
	v_add_f32_e32 v107, v39, v29
	v_mov_b32_e32 v62, v123
	v_sub_f32_e32 v92, v30, v36
	v_add_f32_e32 v118, v17, v118
	v_fma_f32 v119, v103, s3, -v119
	s_mov_b32 s10, 0x3ee437d1
	v_fmac_f32_e32 v62, 0x3dbcf732, v107
	v_mul_f32_e32 v124, 0xbeb8f4ab, v92
	v_add_f32_e32 v118, v119, v118
	v_fma_f32 v119, v104, s8, -v120
	s_mov_b32 s9, 0xbf7ba420
	v_add_f32_e32 v61, v62, v61
	v_add_f32_e32 v108, v37, v31
	v_mov_b32_e32 v62, v124
	v_sub_f32_e32 v93, v32, v34
	v_add_f32_e32 v118, v119, v118
	v_fma_f32 v119, v105, s10, -v121
	s_mov_b32 s11, 0x3dbcf732
	v_fmac_f32_e32 v62, 0x3f6eb680, v108
	v_mul_f32_e32 v125, 0xbf4c4adb, v93
	v_add_f32_e32 v118, v119, v118
	v_fma_f32 v119, v106, s9, -v122
	s_mov_b32 s17, 0x3f6eb680
	v_add_f32_e32 v61, v62, v61
	v_add_f32_e32 v109, v35, v33
	v_mov_b32_e32 v62, v125
	v_sub_f32_e32 v110, v19, v46
	v_add_f32_e32 v118, v119, v118
	v_fma_f32 v119, v107, s11, -v123
	s_mov_b32 s16, 0xbf1a4643
	v_fmac_f32_e32 v62, 0xbf1a4643, v109
	v_add_f32_e32 v94, v45, v18
	v_mul_f32_e32 v126, 0xbf763a35, v110
	v_sub_f32_e32 v111, v21, v3
	v_add_f32_e32 v118, v119, v118
	v_fma_f32 v119, v108, s17, -v124
	v_add_f32_e32 v62, v62, v61
	v_fma_f32 v61, v94, s2, -v126
	v_add_f32_e32 v95, v2, v20
	v_mul_f32_e32 v127, 0x3f06c442, v111
	v_add_f32_e32 v118, v119, v118
	v_fma_f32 v119, v109, s16, -v125
	v_fmac_f32_e32 v126, 0xbe8c1d8e, v94
	v_fma_f32 v63, v95, s3, -v127
	v_sub_f32_e32 v112, v23, v1
	v_add_f32_e32 v119, v119, v118
	v_add_f32_e32 v118, v16, v126
	v_fmac_f32_e32 v127, 0xbf59a7d5, v95
	v_mul_f32_e32 v126, 0x3dbcf732, v102
	v_add_f32_e32 v61, v16, v61
	v_add_f32_e32 v96, v0, v22
	v_mul_f32_e32 v128, 0x3f2c7751, v112
	v_add_f32_e32 v118, v127, v118
	v_mov_b32_e32 v120, v126
	v_mul_f32_e32 v127, 0xbf7ba420, v103
	v_add_f32_e32 v61, v63, v61
	v_fma_f32 v63, v96, s8, -v128
	v_sub_f32_e32 v113, v25, v43
	v_fmac_f32_e32 v128, 0x3f3d2fb0, v96
	v_fmac_f32_e32 v120, 0x3f7ee86f, v86
	v_mov_b32_e32 v121, v127
	v_add_f32_e32 v97, v42, v24
	v_mul_f32_e32 v129, 0xbf65296c, v113
	v_add_f32_e32 v118, v128, v118
	v_add_f32_e32 v120, v17, v120
	v_fmac_f32_e32 v121, 0x3e3c28d5, v87
	v_mul_f32_e32 v128, 0xbe8c1d8e, v104
	v_add_f32_e32 v61, v63, v61
	v_fma_f32 v63, v97, s10, -v129
	v_sub_f32_e32 v114, v27, v41
	v_fmac_f32_e32 v129, 0x3ee437d1, v97
	v_add_f32_e32 v120, v121, v120
	v_mov_b32_e32 v121, v128
	v_add_f32_e32 v98, v40, v26
	v_mul_f32_e32 v130, 0xbe3c28d5, v114
	v_sub_f32_e32 v115, v29, v39
	v_add_f32_e32 v118, v129, v118
	v_fmac_f32_e32 v121, 0xbf763a35, v88
	v_mul_f32_e32 v129, 0x3f6eb680, v105
	v_add_f32_e32 v61, v63, v61
	v_fma_f32 v63, v98, s9, -v130
	v_add_f32_e32 v99, v38, v28
	v_mul_f32_e32 v131, 0x3f7ee86f, v115
	v_sub_f32_e32 v116, v31, v37
	v_fmac_f32_e32 v130, 0xbf7ba420, v98
	v_add_f32_e32 v120, v121, v120
	v_mov_b32_e32 v121, v129
	v_add_f32_e32 v61, v63, v61
	v_fma_f32 v63, v99, s11, -v131
	v_add_f32_e32 v100, v36, v30
	v_mul_f32_e32 v132, 0xbeb8f4ab, v116
	v_sub_f32_e32 v117, v33, v35
	v_add_f32_e32 v118, v130, v118
	v_fmac_f32_e32 v121, 0xbeb8f4ab, v89
	v_mul_f32_e32 v130, 0x3ee437d1, v106
	v_add_f32_e32 v61, v63, v61
	v_fma_f32 v63, v100, s17, -v132
	v_add_f32_e32 v101, v34, v32
	v_mul_f32_e32 v133, 0xbf4c4adb, v117
	v_fmac_f32_e32 v131, 0x3dbcf732, v99
	v_add_f32_e32 v120, v121, v120
	v_mov_b32_e32 v121, v130
	v_add_f32_e32 v61, v63, v61
	v_fma_f32 v63, v101, s16, -v133
	v_mul_f32_e32 v73, 0xbf4c4adb, v86
	v_add_f32_e32 v118, v131, v118
	v_fmac_f32_e32 v121, 0x3f65296c, v90
	v_mul_f32_e32 v131, 0xbf59a7d5, v107
	v_add_f32_e32 v61, v63, v61
	v_mov_b32_e32 v63, v73
	v_mul_f32_e32 v74, 0x3f763a35, v87
	v_fmac_f32_e32 v132, 0x3f6eb680, v100
	v_add_f32_e32 v120, v121, v120
	v_mov_b32_e32 v121, v131
	v_fmac_f32_e32 v63, 0xbf1a4643, v102
	v_mov_b32_e32 v64, v74
	v_add_f32_e32 v118, v132, v118
	v_fmac_f32_e32 v121, 0x3f06c442, v91
	v_mul_f32_e32 v132, 0xbf1a4643, v108
	v_add_f32_e32 v63, v17, v63
	v_fmac_f32_e32 v64, 0xbe8c1d8e, v103
	v_mul_f32_e32 v134, 0xbeb8f4ab, v88
	v_fmac_f32_e32 v133, 0xbf1a4643, v101
	v_add_f32_e32 v120, v121, v120
	v_mov_b32_e32 v121, v132
	v_add_f32_e32 v63, v64, v63
	v_mov_b32_e32 v64, v134
	v_fma_f32 v73, v102, s16, -v73
	v_add_f32_e32 v118, v133, v118
	v_fmac_f32_e32 v121, 0xbf4c4adb, v92
	v_mul_f32_e32 v133, 0x3f3d2fb0, v109
	v_fmac_f32_e32 v64, 0x3f6eb680, v104
	v_mul_f32_e32 v135, 0xbf06c442, v89
	v_add_f32_e32 v73, v17, v73
	v_fma_f32 v74, v103, s2, -v74
	v_add_f32_e32 v120, v121, v120
	v_mov_b32_e32 v121, v133
	v_add_f32_e32 v63, v64, v63
	v_mov_b32_e32 v64, v135
	v_add_f32_e32 v73, v74, v73
	v_fma_f32 v74, v104, s17, -v134
	v_fmac_f32_e32 v121, 0xbf2c7751, v93
	v_mul_f32_e32 v134, 0xbf7ee86f, v110
	v_fmac_f32_e32 v64, 0xbf59a7d5, v105
	v_mul_f32_e32 v136, 0x3f7ee86f, v90
	v_add_f32_e32 v73, v74, v73
	v_fma_f32 v74, v105, s3, -v135
	v_add_f32_e32 v121, v121, v120
	v_mov_b32_e32 v120, v134
	v_mul_f32_e32 v135, 0xbe3c28d5, v111
	v_add_f32_e32 v63, v64, v63
	v_mov_b32_e32 v64, v136
	v_fmac_f32_e32 v120, 0x3dbcf732, v94
	v_mov_b32_e32 v122, v135
	v_fmac_f32_e32 v64, 0x3dbcf732, v106
	v_mul_f32_e32 v137, 0xbf2c7751, v91
	v_add_f32_e32 v73, v74, v73
	v_fma_f32 v74, v106, s11, -v136
	v_add_f32_e32 v120, v16, v120
	v_fmac_f32_e32 v122, 0xbf7ba420, v95
	v_mul_f32_e32 v136, 0x3f763a35, v112
	v_add_f32_e32 v63, v64, v63
	v_mov_b32_e32 v64, v137
	v_add_f32_e32 v120, v122, v120
	v_mov_b32_e32 v122, v136
	v_fmac_f32_e32 v64, 0x3f3d2fb0, v107
	v_mul_f32_e32 v138, 0xbe3c28d5, v92
	v_add_f32_e32 v73, v74, v73
	v_fma_f32 v74, v107, s8, -v137
	v_fmac_f32_e32 v122, 0xbe8c1d8e, v96
	v_mul_f32_e32 v137, 0x3eb8f4ab, v113
	v_add_f32_e32 v63, v64, v63
	v_mov_b32_e32 v64, v138
	v_add_f32_e32 v120, v122, v120
	v_mov_b32_e32 v122, v137
	v_fmac_f32_e32 v64, 0xbf7ba420, v108
	v_mul_f32_e32 v139, 0x3f65296c, v93
	v_add_f32_e32 v73, v74, v73
	v_fma_f32 v74, v108, s9, -v138
	;; [unrolled: 10-line block ×3, first 2 shown]
	v_fmac_f32_e32 v122, 0x3ee437d1, v98
	v_mul_f32_e32 v139, 0xbf06c442, v115
	v_add_f32_e32 v64, v64, v63
	v_fma_f32 v63, v94, s16, -v140
	v_fmac_f32_e32 v140, 0xbf1a4643, v94
	v_add_f32_e32 v120, v122, v120
	v_mov_b32_e32 v122, v139
	v_mul_f32_e32 v141, 0x3f763a35, v111
	v_add_f32_e32 v74, v74, v73
	v_add_f32_e32 v73, v16, v140
	v_fmac_f32_e32 v122, 0xbf59a7d5, v99
	v_mul_f32_e32 v140, 0x3f4c4adb, v116
	v_fma_f32 v65, v95, s2, -v141
	v_fmac_f32_e32 v141, 0xbe8c1d8e, v95
	v_add_f32_e32 v120, v122, v120
	v_mov_b32_e32 v122, v140
	v_add_f32_e32 v63, v16, v63
	v_mul_f32_e32 v142, 0xbeb8f4ab, v112
	v_add_f32_e32 v73, v141, v73
	v_fmac_f32_e32 v122, 0xbf1a4643, v100
	v_mul_f32_e32 v141, 0x3f2c7751, v117
	v_add_f32_e32 v63, v65, v63
	v_fma_f32 v65, v96, s17, -v142
	v_mul_f32_e32 v143, 0xbf06c442, v113
	v_fmac_f32_e32 v142, 0x3f6eb680, v96
	v_add_f32_e32 v120, v122, v120
	v_mov_b32_e32 v122, v141
	v_add_f32_e32 v63, v65, v63
	v_fma_f32 v65, v97, s3, -v143
	v_add_f32_e32 v73, v142, v73
	v_fmac_f32_e32 v143, 0xbf59a7d5, v97
	v_fmac_f32_e32 v122, 0x3f3d2fb0, v101
	v_mul_f32_e32 v142, 0x3ee437d1, v102
	v_mul_f32_e32 v144, 0x3f7ee86f, v114
	v_add_f32_e32 v73, v143, v73
	v_add_f32_e32 v120, v122, v120
	v_mov_b32_e32 v122, v142
	v_mul_f32_e32 v143, 0xbf1a4643, v103
	v_add_f32_e32 v63, v65, v63
	v_fma_f32 v65, v98, s11, -v144
	v_mul_f32_e32 v145, 0xbf2c7751, v115
	v_fmac_f32_e32 v144, 0x3dbcf732, v98
	v_fmac_f32_e32 v122, 0x3f65296c, v86
	v_mov_b32_e32 v123, v143
	v_add_f32_e32 v63, v65, v63
	v_fma_f32 v65, v99, s8, -v145
	v_mul_f32_e32 v146, 0xbe3c28d5, v116
	v_add_f32_e32 v73, v144, v73
	v_add_f32_e32 v122, v17, v122
	v_fmac_f32_e32 v123, 0x3f4c4adb, v87
	v_mul_f32_e32 v144, 0xbf7ba420, v104
	v_add_f32_e32 v63, v65, v63
	v_fma_f32 v65, v100, s9, -v146
	v_mul_f32_e32 v147, 0x3f65296c, v117
	v_fmac_f32_e32 v145, 0x3f3d2fb0, v99
	v_add_f32_e32 v122, v123, v122
	v_mov_b32_e32 v123, v144
	v_add_f32_e32 v63, v65, v63
	v_fma_f32 v65, v101, s10, -v147
	v_mul_f32_e32 v71, 0xbf06c442, v86
	v_add_f32_e32 v73, v145, v73
	v_fmac_f32_e32 v123, 0xbe3c28d5, v88
	v_mul_f32_e32 v145, 0xbe8c1d8e, v105
	v_add_f32_e32 v63, v65, v63
	v_mov_b32_e32 v65, v71
	v_mul_f32_e32 v72, 0x3f65296c, v87
	v_fmac_f32_e32 v146, 0xbf7ba420, v100
	v_add_f32_e32 v122, v123, v122
	v_mov_b32_e32 v123, v145
	v_fmac_f32_e32 v65, 0xbf59a7d5, v102
	v_mov_b32_e32 v66, v72
	v_add_f32_e32 v73, v146, v73
	v_fmac_f32_e32 v123, 0xbf763a35, v89
	v_mul_f32_e32 v146, 0x3f3d2fb0, v106
	v_add_f32_e32 v65, v17, v65
	v_fmac_f32_e32 v66, 0x3ee437d1, v103
	v_mul_f32_e32 v148, 0xbf7ee86f, v88
	v_fmac_f32_e32 v147, 0x3ee437d1, v101
	v_add_f32_e32 v122, v123, v122
	v_mov_b32_e32 v123, v146
	v_add_f32_e32 v65, v66, v65
	v_mov_b32_e32 v66, v148
	v_fma_f32 v71, v102, s3, -v71
	v_add_f32_e32 v73, v147, v73
	v_fmac_f32_e32 v123, 0xbf2c7751, v90
	v_mul_f32_e32 v147, 0x3f6eb680, v107
	v_fmac_f32_e32 v66, 0x3dbcf732, v104
	v_mul_f32_e32 v149, 0x3f4c4adb, v89
	v_add_f32_e32 v71, v17, v71
	v_fma_f32 v72, v103, s10, -v72
	v_add_f32_e32 v122, v123, v122
	v_mov_b32_e32 v123, v147
	v_add_f32_e32 v65, v66, v65
	v_mov_b32_e32 v66, v149
	v_add_f32_e32 v71, v72, v71
	v_fma_f32 v72, v104, s11, -v148
	v_fmac_f32_e32 v123, 0x3eb8f4ab, v91
	v_mul_f32_e32 v148, 0x3dbcf732, v108
	v_fmac_f32_e32 v66, 0xbf1a4643, v105
	v_mul_f32_e32 v150, 0xbeb8f4ab, v90
	v_add_f32_e32 v122, v123, v122
	v_mov_b32_e32 v123, v148
	v_add_f32_e32 v65, v66, v65
	v_mov_b32_e32 v66, v150
	v_add_f32_e32 v71, v72, v71
	v_fma_f32 v72, v105, s16, -v149
	v_fmac_f32_e32 v123, 0x3f7ee86f, v92
	v_mul_f32_e32 v149, 0xbf59a7d5, v109
	v_fmac_f32_e32 v66, 0x3f6eb680, v106
	v_mul_f32_e32 v151, 0xbe3c28d5, v91
	;; [unrolled: 10-line block ×3, first 2 shown]
	v_add_f32_e32 v71, v72, v71
	v_fma_f32 v72, v107, s9, -v151
	v_add_f32_e32 v123, v123, v122
	v_mov_b32_e32 v122, v150
	v_mul_f32_e32 v151, 0xbf4c4adb, v111
	v_add_f32_e32 v19, v19, v17
	v_add_f32_e32 v65, v66, v65
	v_mov_b32_e32 v66, v152
	v_fmac_f32_e32 v122, 0x3ee437d1, v94
	v_mov_b32_e32 v124, v151
	v_add_f32_e32 v19, v21, v19
	v_fmac_f32_e32 v66, 0x3f3d2fb0, v108
	v_mul_f32_e32 v153, 0xbf763a35, v93
	v_add_f32_e32 v71, v72, v71
	v_fma_f32 v72, v108, s8, -v152
	v_add_f32_e32 v122, v16, v122
	v_fmac_f32_e32 v124, 0xbf1a4643, v95
	v_mul_f32_e32 v152, 0x3e3c28d5, v112
	v_add_f32_e32 v19, v23, v19
	v_add_f32_e32 v65, v66, v65
	v_mov_b32_e32 v66, v153
	v_add_f32_e32 v122, v124, v122
	v_mov_b32_e32 v124, v152
	v_add_f32_e32 v19, v25, v19
	v_fmac_f32_e32 v66, 0xbe8c1d8e, v109
	v_mul_f32_e32 v154, 0xbf06c442, v110
	v_add_f32_e32 v71, v72, v71
	v_fma_f32 v72, v109, s2, -v153
	v_fmac_f32_e32 v124, 0xbf7ba420, v96
	v_mul_f32_e32 v153, 0x3f763a35, v113
	v_add_f32_e32 v19, v27, v19
	v_add_f32_e32 v66, v66, v65
	v_fma_f32 v65, v94, s3, -v154
	v_fmac_f32_e32 v154, 0xbf59a7d5, v94
	v_add_f32_e32 v122, v124, v122
	v_mov_b32_e32 v124, v153
	v_add_f32_e32 v19, v29, v19
	v_mul_f32_e32 v155, 0x3f65296c, v111
	v_add_f32_e32 v72, v72, v71
	v_add_f32_e32 v71, v16, v154
	v_fmac_f32_e32 v124, 0xbe8c1d8e, v97
	v_mul_f32_e32 v154, 0x3f2c7751, v114
	v_add_f32_e32 v19, v31, v19
	v_fma_f32 v67, v95, s10, -v155
	v_fmac_f32_e32 v155, 0x3ee437d1, v95
	v_add_f32_e32 v122, v124, v122
	v_mov_b32_e32 v124, v154
	v_add_f32_e32 v19, v33, v19
	v_add_f32_e32 v65, v16, v65
	v_mul_f32_e32 v156, 0xbf7ee86f, v112
	v_add_f32_e32 v71, v155, v71
	v_fmac_f32_e32 v124, 0x3f3d2fb0, v98
	v_mul_f32_e32 v155, 0xbeb8f4ab, v115
	v_add_f32_e32 v19, v35, v19
	v_add_f32_e32 v65, v67, v65
	v_fma_f32 v67, v96, s11, -v156
	v_mul_f32_e32 v157, 0x3f4c4adb, v113
	v_fmac_f32_e32 v156, 0x3dbcf732, v96
	v_add_f32_e32 v122, v124, v122
	v_mov_b32_e32 v124, v155
	v_add_f32_e32 v19, v37, v19
	v_add_f32_e32 v65, v67, v65
	v_fma_f32 v67, v97, s16, -v157
	v_mul_f32_e32 v158, 0xbeb8f4ab, v114
	v_add_f32_e32 v71, v156, v71
	v_fmac_f32_e32 v124, 0x3f6eb680, v99
	v_mul_f32_e32 v156, 0xbf7ee86f, v116
	v_add_f32_e32 v19, v39, v19
	v_add_f32_e32 v65, v67, v65
	v_fma_f32 v67, v98, s17, -v158
	v_mul_f32_e32 v159, 0xbe3c28d5, v115
	v_fmac_f32_e32 v157, 0xbf1a4643, v97
	v_add_f32_e32 v122, v124, v122
	v_mov_b32_e32 v124, v156
	v_add_f32_e32 v19, v41, v19
	v_add_f32_e32 v65, v67, v65
	v_fma_f32 v67, v99, s9, -v159
	;; [unrolled: 14-line block ×3, first 2 shown]
	v_mul_f32_e32 v69, 0xbe3c28d5, v86
	v_add_f32_e32 v71, v158, v71
	v_fmac_f32_e32 v159, 0xbf7ba420, v99
	v_fmac_f32_e32 v124, 0xbf59a7d5, v101
	v_mul_f32_e32 v158, 0x3f3d2fb0, v102
	v_add_f32_e32 v1, v3, v1
	v_add_f32_e32 v3, v18, v16
	;; [unrolled: 1-line block ×3, first 2 shown]
	v_mov_b32_e32 v67, v69
	v_mul_f32_e32 v70, 0x3eb8f4ab, v87
	v_add_f32_e32 v71, v159, v71
	v_add_f32_e32 v122, v124, v122
	v_mov_b32_e32 v124, v158
	v_mul_f32_e32 v159, 0x3dbcf732, v103
	v_add_f32_e32 v3, v20, v3
	v_fmac_f32_e32 v67, 0xbf7ba420, v102
	v_mov_b32_e32 v68, v70
	v_fmac_f32_e32 v160, 0x3f3d2fb0, v100
	v_fmac_f32_e32 v124, 0x3f2c7751, v86
	v_mov_b32_e32 v125, v159
	v_add_f32_e32 v3, v22, v3
	v_add_f32_e32 v67, v17, v67
	v_fmac_f32_e32 v68, 0x3f6eb680, v103
	v_mul_f32_e32 v162, 0xbf06c442, v88
	v_add_f32_e32 v71, v160, v71
	v_add_f32_e32 v124, v17, v124
	v_fmac_f32_e32 v125, 0x3f7ee86f, v87
	v_mul_f32_e32 v160, 0xbf1a4643, v104
	v_add_f32_e32 v3, v24, v3
	v_add_f32_e32 v67, v68, v67
	v_mov_b32_e32 v68, v162
	v_fmac_f32_e32 v161, 0xbe8c1d8e, v101
	v_add_f32_e32 v124, v125, v124
	v_mov_b32_e32 v125, v160
	v_add_f32_e32 v3, v26, v3
	v_fmac_f32_e32 v68, 0xbf59a7d5, v104
	v_mul_f32_e32 v163, 0x3f2c7751, v89
	v_fma_f32 v69, v102, s9, -v69
	v_add_f32_e32 v71, v161, v71
	v_fmac_f32_e32 v125, 0x3f4c4adb, v88
	v_mul_f32_e32 v161, 0xbf7ba420, v105
	v_add_f32_e32 v3, v28, v3
	v_add_f32_e32 v67, v68, v67
	v_mov_b32_e32 v68, v163
	v_add_f32_e32 v69, v17, v69
	v_fma_f32 v70, v103, s17, -v70
	v_add_f32_e32 v124, v125, v124
	v_mov_b32_e32 v125, v161
	v_add_f32_e32 v3, v30, v3
	v_fmac_f32_e32 v68, 0x3f3d2fb0, v105
	v_mul_f32_e32 v164, 0xbf4c4adb, v90
	v_add_f32_e32 v69, v70, v69
	v_fma_f32 v70, v104, s3, -v162
	v_fmac_f32_e32 v125, 0x3e3c28d5, v89
	v_mul_f32_e32 v162, 0xbf59a7d5, v106
	v_add_f32_e32 v3, v32, v3
	v_add_f32_e32 v67, v68, v67
	v_mov_b32_e32 v68, v164
	v_add_f32_e32 v124, v125, v124
	v_mov_b32_e32 v125, v162
	v_add_f32_e32 v3, v34, v3
	v_fmac_f32_e32 v68, 0xbf1a4643, v106
	v_mul_f32_e32 v165, 0x3f65296c, v91
	v_add_f32_e32 v69, v70, v69
	v_fma_f32 v70, v105, s8, -v163
	v_fmac_f32_e32 v125, 0xbf06c442, v90
	v_mul_f32_e32 v163, 0xbe8c1d8e, v107
	v_add_f32_e32 v3, v36, v3
	v_add_f32_e32 v67, v68, v67
	v_mov_b32_e32 v68, v165
	;; [unrolled: 12-line block ×3, first 2 shown]
	v_add_f32_e32 v124, v125, v124
	v_mov_b32_e32 v125, v164
	v_add_f32_e32 v3, v42, v3
	v_fmac_f32_e32 v68, 0xbe8c1d8e, v108
	v_mul_f32_e32 v167, 0x3f7ee86f, v93
	v_add_f32_e32 v69, v70, v69
	v_fma_f32 v70, v107, s10, -v165
	v_fmac_f32_e32 v125, 0xbf65296c, v92
	v_mul_f32_e32 v165, 0x3f6eb680, v109
	v_add_f32_e32 v0, v0, v3
	v_fmac_f32_e32 v126, 0xbf7ee86f, v86
	v_add_f32_e32 v67, v68, v67
	v_mov_b32_e32 v68, v167
	v_add_f32_e32 v124, v125, v124
	v_mov_b32_e32 v125, v165
	v_add_f32_e32 v0, v2, v0
	v_add_f32_e32 v2, v17, v126
	v_fmac_f32_e32 v127, 0xbe3c28d5, v87
	v_fmac_f32_e32 v68, 0x3dbcf732, v109
	v_mul_f32_e32 v168, 0xbe3c28d5, v110
	v_add_f32_e32 v69, v70, v69
	v_fma_f32 v70, v108, s2, -v166
	v_fmac_f32_e32 v125, 0xbeb8f4ab, v93
	v_mul_f32_e32 v166, 0xbf2c7751, v110
	v_add_f32_e32 v2, v127, v2
	v_fmac_f32_e32 v128, 0x3f763a35, v88
	v_add_f32_e32 v68, v68, v67
	v_fma_f32 v67, v94, s9, -v168
	v_add_f32_e32 v69, v70, v69
	v_fma_f32 v70, v109, s11, -v167
	v_fmac_f32_e32 v168, 0xbf7ba420, v94
	v_add_f32_e32 v125, v125, v124
	v_mov_b32_e32 v124, v166
	v_mul_f32_e32 v167, 0xbf7ee86f, v111
	v_add_f32_e32 v2, v128, v2
	v_fmac_f32_e32 v129, 0x3eb8f4ab, v89
	v_add_f32_e32 v70, v70, v69
	v_add_f32_e32 v69, v16, v168
	v_fmac_f32_e32 v124, 0x3f3d2fb0, v94
	v_mov_b32_e32 v168, v167
	v_add_f32_e32 v2, v129, v2
	v_fmac_f32_e32 v130, 0xbf65296c, v90
	v_mul_f32_e32 v169, 0x3eb8f4ab, v111
	v_add_f32_e32 v124, v16, v124
	v_fmac_f32_e32 v168, 0x3dbcf732, v95
	v_add_f32_e32 v2, v130, v2
	v_fmac_f32_e32 v131, 0xbf06c442, v91
	v_fma_f32 v170, v95, s17, -v169
	v_fmac_f32_e32 v169, 0x3f6eb680, v95
	v_add_f32_e32 v124, v168, v124
	v_mul_f32_e32 v168, 0xbf4c4adb, v112
	v_add_f32_e32 v2, v131, v2
	v_fmac_f32_e32 v132, 0x3f4c4adb, v92
	v_add_f32_e32 v67, v16, v67
	v_add_f32_e32 v69, v169, v69
	v_mov_b32_e32 v169, v168
	v_add_f32_e32 v2, v132, v2
	v_fmac_f32_e32 v133, 0x3f2c7751, v93
	v_add_f32_e32 v67, v170, v67
	v_mul_f32_e32 v170, 0xbf06c442, v112
	v_fmac_f32_e32 v169, 0xbf1a4643, v96
	v_add_f32_e32 v3, v133, v2
	v_fma_f32 v2, v94, s11, -v134
	v_fma_f32 v171, v96, s3, -v170
	v_fmac_f32_e32 v170, 0xbf59a7d5, v96
	v_add_f32_e32 v124, v169, v124
	v_mul_f32_e32 v169, 0xbe3c28d5, v113
	v_add_f32_e32 v2, v16, v2
	v_fma_f32 v18, v95, s9, -v135
	v_add_f32_e32 v69, v170, v69
	v_mov_b32_e32 v170, v169
	v_add_f32_e32 v2, v18, v2
	v_fma_f32 v18, v96, s2, -v136
	v_add_f32_e32 v67, v171, v67
	v_mul_f32_e32 v171, 0x3f2c7751, v113
	v_fmac_f32_e32 v170, 0xbf7ba420, v97
	v_add_f32_e32 v2, v18, v2
	v_fma_f32 v18, v97, s17, -v137
	v_fma_f32 v172, v97, s8, -v171
	v_fmac_f32_e32 v171, 0x3f3d2fb0, v97
	v_add_f32_e32 v124, v170, v124
	v_mul_f32_e32 v170, 0x3f06c442, v114
	v_add_f32_e32 v2, v18, v2
	v_fma_f32 v18, v98, s10, -v138
	v_add_f32_e32 v69, v171, v69
	v_mov_b32_e32 v171, v170
	v_add_f32_e32 v2, v18, v2
	v_fma_f32 v18, v99, s3, -v139
	v_add_f32_e32 v67, v172, v67
	v_mul_f32_e32 v172, 0xbf4c4adb, v114
	v_fmac_f32_e32 v171, 0xbf59a7d5, v98
	v_add_f32_e32 v2, v18, v2
	v_fma_f32 v18, v100, s16, -v140
	v_fma_f32 v173, v98, s16, -v172
	v_fmac_f32_e32 v172, 0xbf1a4643, v98
	v_add_f32_e32 v124, v171, v124
	v_mul_f32_e32 v171, 0x3f763a35, v115
	v_add_f32_e32 v2, v18, v2
	v_fma_f32 v18, v101, s8, -v141
	v_fmac_f32_e32 v142, 0xbf65296c, v86
	v_add_f32_e32 v69, v172, v69
	v_mov_b32_e32 v172, v171
	v_add_f32_e32 v2, v18, v2
	v_add_f32_e32 v18, v17, v142
	v_fmac_f32_e32 v143, 0xbf4c4adb, v87
	v_add_f32_e32 v67, v173, v67
	v_mul_f32_e32 v173, 0x3f65296c, v115
	v_fmac_f32_e32 v172, 0xbe8c1d8e, v99
	v_add_f32_e32 v18, v143, v18
	v_fmac_f32_e32 v144, 0x3e3c28d5, v88
	v_fma_f32 v174, v99, s10, -v173
	v_fmac_f32_e32 v173, 0x3ee437d1, v99
	v_add_f32_e32 v124, v172, v124
	v_mul_f32_e32 v172, 0x3f65296c, v116
	v_add_f32_e32 v18, v144, v18
	v_fmac_f32_e32 v145, 0x3f763a35, v89
	v_add_f32_e32 v69, v173, v69
	v_mov_b32_e32 v173, v172
	v_add_f32_e32 v18, v145, v18
	v_fmac_f32_e32 v146, 0x3f2c7751, v90
	v_add_f32_e32 v67, v174, v67
	v_mul_f32_e32 v174, 0xbf763a35, v116
	v_fmac_f32_e32 v173, 0x3ee437d1, v100
	v_add_f32_e32 v18, v146, v18
	v_fmac_f32_e32 v147, 0xbeb8f4ab, v91
	v_fma_f32 v175, v100, s2, -v174
	v_fmac_f32_e32 v174, 0xbe8c1d8e, v100
	v_add_f32_e32 v124, v173, v124
	v_mul_f32_e32 v173, 0x3eb8f4ab, v117
	v_add_f32_e32 v18, v147, v18
	v_fmac_f32_e32 v148, 0xbf7ee86f, v92
	v_add_f32_e32 v69, v174, v69
	v_mov_b32_e32 v174, v173
	v_add_f32_e32 v18, v148, v18
	v_fmac_f32_e32 v149, 0xbf06c442, v93
	v_add_f32_e32 v67, v175, v67
	v_mul_f32_e32 v175, 0x3f7ee86f, v117
	v_fmac_f32_e32 v174, 0x3f6eb680, v101
	v_add_f32_e32 v19, v149, v18
	v_fma_f32 v18, v94, s10, -v150
	v_fma_f32 v176, v101, s11, -v175
	v_fmac_f32_e32 v175, 0x3dbcf732, v101
	v_add_f32_e32 v124, v174, v124
	v_mul_f32_e32 v174, 0x3f6eb680, v102
	v_add_f32_e32 v18, v16, v18
	v_fma_f32 v20, v95, s16, -v151
	v_add_f32_e32 v69, v175, v69
	v_mov_b32_e32 v102, v174
	v_mul_f32_e32 v175, 0x3f3d2fb0, v103
	v_add_f32_e32 v18, v20, v18
	v_fma_f32 v20, v96, s9, -v152
	v_fmac_f32_e32 v102, 0x3eb8f4ab, v86
	v_mov_b32_e32 v103, v175
	v_add_f32_e32 v18, v20, v18
	v_fma_f32 v20, v97, s2, -v153
	v_add_f32_e32 v102, v17, v102
	v_fmac_f32_e32 v103, 0x3f2c7751, v87
	v_mul_f32_e32 v104, 0x3ee437d1, v104
	v_add_f32_e32 v18, v20, v18
	v_fma_f32 v20, v98, s8, -v154
	v_add_f32_e32 v102, v103, v102
	v_mov_b32_e32 v103, v104
	v_add_f32_e32 v18, v20, v18
	v_fma_f32 v20, v99, s17, -v155
	v_fmac_f32_e32 v103, 0x3f65296c, v88
	v_mul_f32_e32 v105, 0x3dbcf732, v105
	v_add_f32_e32 v18, v20, v18
	v_fma_f32 v20, v100, s11, -v156
	v_add_f32_e32 v102, v103, v102
	v_mov_b32_e32 v103, v105
	v_add_f32_e32 v18, v20, v18
	v_fma_f32 v20, v101, s3, -v157
	v_fmac_f32_e32 v158, 0xbf2c7751, v86
	v_fmac_f32_e32 v103, 0x3f7ee86f, v89
	v_mul_f32_e32 v106, 0xbe8c1d8e, v106
	v_add_f32_e32 v18, v20, v18
	v_add_f32_e32 v20, v17, v158
	v_fmac_f32_e32 v159, 0xbf7ee86f, v87
	v_add_f32_e32 v102, v103, v102
	v_mov_b32_e32 v103, v106
	v_add_f32_e32 v20, v159, v20
	v_fmac_f32_e32 v160, 0xbf4c4adb, v88
	v_fmac_f32_e32 v103, 0x3f763a35, v90
	v_mul_f32_e32 v107, 0xbf1a4643, v107
	v_add_f32_e32 v20, v160, v20
	v_fmac_f32_e32 v161, 0xbe3c28d5, v89
	v_add_f32_e32 v102, v103, v102
	v_mov_b32_e32 v103, v107
	v_add_f32_e32 v20, v161, v20
	v_fmac_f32_e32 v162, 0x3f06c442, v90
	v_fmac_f32_e32 v103, 0x3f4c4adb, v91
	v_mul_f32_e32 v108, 0xbf59a7d5, v108
	;; [unrolled: 8-line block ×3, first 2 shown]
	v_add_f32_e32 v20, v164, v20
	v_fmac_f32_e32 v165, 0x3eb8f4ab, v93
	v_add_f32_e32 v102, v103, v102
	v_mov_b32_e32 v103, v109
	v_add_f32_e32 v21, v165, v20
	v_fma_f32 v20, v94, s8, -v166
	v_fmac_f32_e32 v103, 0x3e3c28d5, v93
	v_mul_f32_e32 v110, 0xbeb8f4ab, v110
	v_add_f32_e32 v20, v16, v20
	v_fma_f32 v22, v95, s11, -v167
	v_add_f32_e32 v103, v103, v102
	v_mov_b32_e32 v102, v110
	v_mul_f32_e32 v111, 0xbf2c7751, v111
	v_add_f32_e32 v20, v22, v20
	v_fma_f32 v22, v96, s16, -v168
	v_add_f32_e32 v67, v176, v67
	v_fmac_f32_e32 v102, 0x3f6eb680, v94
	v_mov_b32_e32 v176, v111
	v_add_f32_e32 v20, v22, v20
	v_fma_f32 v22, v97, s9, -v169
	v_add_f32_e32 v102, v16, v102
	v_fmac_f32_e32 v176, 0x3f3d2fb0, v95
	v_mul_f32_e32 v112, 0xbf65296c, v112
	v_add_f32_e32 v20, v22, v20
	v_fma_f32 v22, v98, s3, -v170
	v_add_f32_e32 v102, v176, v102
	v_mov_b32_e32 v176, v112
	v_add_f32_e32 v20, v22, v20
	v_fma_f32 v22, v99, s2, -v171
	v_fmac_f32_e32 v176, 0x3ee437d1, v96
	v_mul_f32_e32 v113, 0xbf7ee86f, v113
	v_add_f32_e32 v20, v22, v20
	v_fma_f32 v22, v100, s10, -v172
	v_add_f32_e32 v102, v176, v102
	v_mov_b32_e32 v176, v113
	v_add_f32_e32 v20, v22, v20
	v_fma_f32 v22, v101, s17, -v173
	;; [unrolled: 8-line block ×3, first 2 shown]
	v_fmac_f32_e32 v176, 0xbe8c1d8e, v98
	v_mul_f32_e32 v115, 0xbf4c4adb, v115
	v_fmac_f32_e32 v174, 0xbeb8f4ab, v86
	v_add_f32_e32 v16, v22, v16
	v_fma_f32 v22, v96, s10, -v112
	v_add_f32_e32 v102, v176, v102
	v_mov_b32_e32 v176, v115
	v_add_f32_e32 v17, v17, v174
	v_fmac_f32_e32 v175, 0xbf2c7751, v87
	v_add_f32_e32 v16, v22, v16
	v_fma_f32 v22, v97, s11, -v113
	v_fmac_f32_e32 v176, 0xbf1a4643, v99
	v_mul_f32_e32 v116, 0xbf06c442, v116
	v_add_f32_e32 v17, v175, v17
	v_fmac_f32_e32 v104, 0xbf65296c, v88
	v_add_f32_e32 v16, v22, v16
	v_fma_f32 v22, v98, s2, -v114
	v_add_f32_e32 v102, v176, v102
	v_mov_b32_e32 v176, v116
	v_add_f32_e32 v17, v104, v17
	v_fmac_f32_e32 v105, 0xbf7ee86f, v89
	v_add_f32_e32 v16, v22, v16
	v_fma_f32 v22, v99, s16, -v115
	v_fmac_f32_e32 v176, 0xbf59a7d5, v100
	v_mul_f32_e32 v117, 0xbe3c28d5, v117
	v_add_f32_e32 v17, v105, v17
	v_fmac_f32_e32 v106, 0xbf763a35, v90
	v_add_f32_e32 v16, v22, v16
	v_fma_f32 v22, v100, s3, -v116
	v_add_f32_e32 v102, v176, v102
	v_mov_b32_e32 v176, v117
	v_add_f32_e32 v17, v106, v17
	v_fmac_f32_e32 v107, 0xbf4c4adb, v91
	v_add_f32_e32 v16, v22, v16
	v_fma_f32 v22, v101, s9, -v117
	v_fmac_f32_e32 v176, 0xbf7ba420, v101
	v_add_f32_e32 v17, v107, v17
	v_fmac_f32_e32 v108, 0xbf06c442, v92
	v_add_f32_e32 v16, v22, v16
	v_mul_lo_u16_e32 v22, 17, v75
	v_add_f32_e32 v102, v176, v102
	v_add_f32_e32 v1, v46, v1
	v_add_f32_e32 v0, v45, v0
	v_add_f32_e32 v17, v108, v17
	v_fmac_f32_e32 v109, 0xbe3c28d5, v93
	v_lshl_add_u32 v22, v22, 3, v78
	v_add_f32_e32 v17, v109, v17
	ds_write2_b64 v22, v[0:1], v[102:103] offset1:1
	ds_write2_b64 v22, v[124:125], v[122:123] offset0:2 offset1:3
	ds_write2_b64 v22, v[120:121], v[118:119] offset0:4 offset1:5
	;; [unrolled: 1-line block ×7, first 2 shown]
	ds_write_b64 v22, v[16:17] offset:128
.LBB0_13:
	s_or_b64 exec, exec, s[0:1]
	s_waitcnt lgkmcnt(0)
	; wave barrier
	s_waitcnt lgkmcnt(0)
	ds_read2_b64 v[0:3], v79 offset1:17
	ds_read2_b64 v[16:19], v79 offset0:34 offset1:51
	ds_read2_b64 v[20:23], v79 offset0:68 offset1:85
	;; [unrolled: 1-line block ×6, first 2 shown]
	s_waitcnt lgkmcnt(5)
	v_mul_f32_e32 v40, v13, v17
	v_fmac_f32_e32 v40, v12, v16
	v_mul_f32_e32 v16, v13, v16
	v_fma_f32 v16, v12, v17, -v16
	s_waitcnt lgkmcnt(4)
	v_mul_f32_e32 v17, v15, v21
	v_fmac_f32_e32 v17, v14, v20
	v_mul_f32_e32 v20, v15, v20
	v_fma_f32 v20, v14, v21, -v20
	;; [unrolled: 5-line block ×6, first 2 shown]
	v_mul_f32_e32 v37, v13, v19
	v_mul_f32_e32 v13, v13, v18
	v_fmac_f32_e32 v37, v12, v18
	v_fma_f32 v18, v12, v19, -v13
	v_mul_f32_e32 v19, v15, v23
	v_mul_f32_e32 v12, v15, v22
	v_fmac_f32_e32 v19, v14, v22
	v_fma_f32 v22, v14, v23, -v12
	;; [unrolled: 4-line block ×6, first 2 shown]
	v_add_f32_e32 v4, v40, v33
	v_add_f32_e32 v8, v17, v29
	;; [unrolled: 1-line block ×3, first 2 shown]
	v_sub_f32_e32 v7, v16, v36
	v_add_f32_e32 v9, v20, v32
	v_add_f32_e32 v12, v21, v25
	;; [unrolled: 1-line block ×3, first 2 shown]
	v_sub_f32_e32 v10, v17, v29
	v_sub_f32_e32 v11, v20, v32
	v_add_f32_e32 v13, v24, v28
	v_add_f32_e32 v17, v9, v5
	v_sub_f32_e32 v20, v8, v4
	v_sub_f32_e32 v4, v4, v12
	;; [unrolled: 1-line block ×3, first 2 shown]
	v_add_f32_e32 v12, v12, v16
	v_sub_f32_e32 v6, v40, v33
	v_sub_f32_e32 v14, v25, v21
	;; [unrolled: 1-line block ×6, first 2 shown]
	v_add_f32_e32 v13, v13, v17
	v_add_f32_e32 v0, v0, v12
	;; [unrolled: 1-line block ×4, first 2 shown]
	v_sub_f32_e32 v28, v14, v10
	v_sub_f32_e32 v29, v15, v11
	;; [unrolled: 1-line block ×4, first 2 shown]
	v_add_f32_e32 v1, v1, v13
	v_mov_b32_e32 v32, v0
	v_sub_f32_e32 v14, v6, v14
	v_sub_f32_e32 v15, v7, v15
	v_add_f32_e32 v6, v24, v6
	v_add_f32_e32 v7, v25, v7
	v_mul_f32_e32 v4, 0x3f4a47b2, v4
	v_mul_f32_e32 v5, 0x3f4a47b2, v5
	;; [unrolled: 1-line block ×6, first 2 shown]
	s_mov_b32 s0, 0xbf5ff5aa
	v_mul_f32_e32 v28, 0xbf5ff5aa, v10
	v_mul_f32_e32 v29, 0xbf5ff5aa, v11
	v_fmac_f32_e32 v32, 0xbf955555, v12
	v_mov_b32_e32 v12, v1
	s_mov_b32 s1, 0x3f3bfb3b
	s_mov_b32 s2, 0xbf3bfb3b
	;; [unrolled: 1-line block ×3, first 2 shown]
	v_fmac_f32_e32 v12, 0xbf955555, v13
	v_fma_f32 v13, v20, s1, -v16
	v_fma_f32 v16, v21, s1, -v17
	;; [unrolled: 1-line block ×3, first 2 shown]
	v_fmac_f32_e32 v4, 0x3d64c772, v8
	v_fma_f32 v8, v21, s2, -v5
	v_fma_f32 v20, v10, s0, -v24
	v_fmac_f32_e32 v24, 0xbeae86e6, v14
	v_fma_f32 v10, v11, s0, -v25
	v_fmac_f32_e32 v25, 0xbeae86e6, v15
	v_fma_f32 v14, v14, s3, -v28
	v_fma_f32 v15, v15, s3, -v29
	v_fmac_f32_e32 v5, 0x3d64c772, v9
	v_add_f32_e32 v21, v4, v32
	v_add_f32_e32 v11, v13, v32
	;; [unrolled: 1-line block ×5, first 2 shown]
	v_fmac_f32_e32 v25, 0xbee1c552, v7
	v_fmac_f32_e32 v20, 0xbee1c552, v6
	;; [unrolled: 1-line block ×5, first 2 shown]
	v_add_f32_e32 v28, v5, v12
	v_fmac_f32_e32 v24, 0xbee1c552, v6
	v_add_f32_e32 v4, v25, v21
	v_add_f32_e32 v6, v15, v16
	v_sub_f32_e32 v7, v17, v14
	v_sub_f32_e32 v8, v11, v10
	v_add_f32_e32 v9, v20, v13
	v_add_f32_e32 v10, v10, v11
	v_sub_f32_e32 v11, v13, v20
	v_sub_f32_e32 v12, v16, v15
	v_add_f32_e32 v13, v14, v17
	v_sub_f32_e32 v14, v21, v25
	v_add_f32_e32 v16, v37, v35
	v_add_f32_e32 v21, v19, v31
	v_sub_f32_e32 v5, v28, v24
	v_add_f32_e32 v15, v24, v28
	v_add_f32_e32 v17, v18, v38
	;; [unrolled: 1-line block ×4, first 2 shown]
	v_sub_f32_e32 v23, v27, v23
	v_add_f32_e32 v27, v21, v16
	v_add_f32_e32 v28, v26, v30
	v_sub_f32_e32 v26, v30, v26
	v_add_f32_e32 v29, v24, v17
	v_sub_f32_e32 v30, v21, v16
	v_sub_f32_e32 v16, v16, v25
	;; [unrolled: 1-line block ×3, first 2 shown]
	v_add_f32_e32 v25, v25, v27
	v_sub_f32_e32 v20, v37, v35
	v_sub_f32_e32 v18, v18, v38
	;; [unrolled: 1-line block ×4, first 2 shown]
	v_add_f32_e32 v27, v28, v29
	v_add_f32_e32 v2, v2, v25
	v_sub_f32_e32 v31, v24, v17
	v_sub_f32_e32 v17, v17, v28
	;; [unrolled: 1-line block ×3, first 2 shown]
	v_add_f32_e32 v32, v23, v19
	v_add_f32_e32 v33, v26, v22
	v_sub_f32_e32 v34, v23, v19
	v_sub_f32_e32 v35, v26, v22
	v_sub_f32_e32 v19, v19, v20
	v_sub_f32_e32 v22, v22, v18
	v_add_f32_e32 v3, v3, v27
	v_mov_b32_e32 v36, v2
	v_sub_f32_e32 v23, v20, v23
	v_sub_f32_e32 v26, v18, v26
	v_add_f32_e32 v20, v32, v20
	v_add_f32_e32 v18, v33, v18
	v_mul_f32_e32 v16, 0x3f4a47b2, v16
	v_mul_f32_e32 v17, 0x3f4a47b2, v17
	;; [unrolled: 1-line block ×8, first 2 shown]
	v_fmac_f32_e32 v36, 0xbf955555, v25
	v_mov_b32_e32 v25, v3
	v_fmac_f32_e32 v25, 0xbf955555, v27
	v_fma_f32 v27, v30, s1, -v28
	v_fma_f32 v28, v31, s1, -v29
	;; [unrolled: 1-line block ×3, first 2 shown]
	v_fmac_f32_e32 v16, 0x3d64c772, v21
	v_fma_f32 v21, v31, s2, -v17
	v_fmac_f32_e32 v17, 0x3d64c772, v24
	v_fma_f32 v24, v19, s0, -v32
	;; [unrolled: 2-line block ×4, first 2 shown]
	v_fma_f32 v26, v26, s3, -v35
	v_add_f32_e32 v31, v16, v36
	v_add_f32_e32 v34, v17, v25
	;; [unrolled: 1-line block ×6, first 2 shown]
	v_fmac_f32_e32 v32, 0xbee1c552, v20
	v_fmac_f32_e32 v33, 0xbee1c552, v18
	;; [unrolled: 1-line block ×6, first 2 shown]
	v_add_f32_e32 v16, v33, v31
	v_sub_f32_e32 v17, v34, v32
	v_add_f32_e32 v18, v26, v28
	v_sub_f32_e32 v19, v25, v30
	v_sub_f32_e32 v20, v23, v22
	v_add_f32_e32 v21, v24, v27
	v_add_f32_e32 v22, v22, v23
	v_sub_f32_e32 v23, v27, v24
	v_sub_f32_e32 v24, v28, v26
	v_add_f32_e32 v25, v30, v25
	v_sub_f32_e32 v26, v31, v33
	v_add_f32_e32 v27, v32, v34
	s_waitcnt lgkmcnt(0)
	; wave barrier
	ds_write2_b64 v79, v[0:1], v[4:5] offset1:17
	ds_write2_b64 v79, v[6:7], v[8:9] offset0:34 offset1:51
	ds_write2_b64 v79, v[10:11], v[12:13] offset0:68 offset1:85
	;; [unrolled: 1-line block ×6, first 2 shown]
	s_waitcnt lgkmcnt(0)
	; wave barrier
	s_waitcnt lgkmcnt(0)
	ds_read2_b64 v[0:3], v79 offset1:17
	ds_read2_b64 v[4:7], v79 offset0:102 offset1:119
	ds_read2_b64 v[8:11], v79 offset0:136 offset1:153
	;; [unrolled: 1-line block ×6, first 2 shown]
	s_waitcnt lgkmcnt(5)
	v_mul_f32_e32 v28, v48, v7
	v_fmac_f32_e32 v28, v47, v6
	v_mul_f32_e32 v6, v48, v6
	v_fma_f32 v7, v47, v7, -v6
	s_waitcnt lgkmcnt(4)
	v_mul_f32_e32 v6, v50, v8
	v_mul_f32_e32 v29, v50, v9
	v_fma_f32 v9, v49, v9, -v6
	v_mul_f32_e32 v6, v52, v10
	v_mul_f32_e32 v30, v52, v11
	v_fma_f32 v11, v51, v11, -v6
	s_waitcnt lgkmcnt(2)
	v_mul_f32_e32 v6, v54, v16
	v_mul_f32_e32 v31, v54, v17
	v_fma_f32 v17, v53, v17, -v6
	v_mul_f32_e32 v6, v56, v18
	v_mul_f32_e32 v32, v56, v19
	v_fma_f32 v19, v55, v19, -v6
	s_waitcnt lgkmcnt(0)
	v_mul_f32_e32 v6, v58, v24
	v_fmac_f32_e32 v29, v49, v8
	v_mul_f32_e32 v33, v58, v25
	v_fma_f32 v25, v57, v25, -v6
	v_mul_f32_e32 v34, v60, v27
	v_mul_f32_e32 v6, v60, v26
	v_fmac_f32_e32 v30, v51, v10
	v_fmac_f32_e32 v31, v53, v16
	;; [unrolled: 1-line block ×5, first 2 shown]
	v_fma_f32 v27, v59, v27, -v6
	v_sub_f32_e32 v6, v0, v28
	v_sub_f32_e32 v7, v1, v7
	;; [unrolled: 1-line block ×4, first 2 shown]
	v_fma_f32 v0, v0, 2.0, -v6
	v_fma_f32 v1, v1, 2.0, -v7
	;; [unrolled: 1-line block ×4, first 2 shown]
	v_sub_f32_e32 v10, v12, v30
	v_sub_f32_e32 v11, v13, v11
	;; [unrolled: 1-line block ×10, first 2 shown]
	v_fma_f32 v12, v12, 2.0, -v10
	v_fma_f32 v13, v13, 2.0, -v11
	;; [unrolled: 1-line block ×10, first 2 shown]
	ds_write2_b64 v80, v[0:1], v[2:3] offset1:17
	ds_write2_b64 v80, v[6:7], v[8:9] offset0:119 offset1:136
	ds_write_b64 v80, v[12:13] offset:272
	ds_write_b64 v85, v[10:11] offset:952
	;; [unrolled: 1-line block ×10, first 2 shown]
	s_waitcnt lgkmcnt(0)
	; wave barrier
	s_waitcnt lgkmcnt(0)
	s_and_b64 exec, exec, vcc
	s_cbranch_execz .LBB0_15
; %bb.14:
	global_load_dwordx2 v[0:1], v76, s[12:13]
	ds_read_b64 v[4:5], v80
	v_mad_u64_u32 v[2:3], s[0:1], s6, v44, 0
	v_mad_u64_u32 v[6:7], s[0:1], s4, v75, 0
	s_waitcnt lgkmcnt(0)
	v_mad_u64_u32 v[8:9], s[2:3], s7, v44, v[3:4]
	s_mov_b32 s0, 0x1135c811
	s_mov_b32 s1, 0x3f7135c8
	v_mad_u64_u32 v[9:10], s[2:3], s5, v75, v[7:8]
	v_mov_b32_e32 v11, s15
	s_mul_i32 s3, s5, 0x70
	v_mov_b32_e32 v7, v9
	v_lshlrev_b64 v[6:7], 3, v[6:7]
	s_mul_hi_u32 s6, s4, 0x70
	s_mul_i32 s2, s4, 0x70
	s_add_i32 s3, s6, s3
	s_waitcnt vmcnt(0)
	v_mul_f32_e32 v3, v5, v1
	v_mul_f32_e32 v1, v4, v1
	v_fmac_f32_e32 v3, v4, v0
	v_fma_f32 v4, v0, v5, -v1
	v_cvt_f64_f32_e32 v[0:1], v3
	v_cvt_f64_f32_e32 v[4:5], v4
	v_mov_b32_e32 v3, v8
	v_lshlrev_b64 v[2:3], 3, v[2:3]
	v_mul_f64 v[0:1], v[0:1], s[0:1]
	v_mul_f64 v[4:5], v[4:5], s[0:1]
	v_add_co_u32_e32 v9, vcc, s14, v2
	v_addc_co_u32_e32 v10, vcc, v11, v3, vcc
	v_lshl_add_u32 v11, v77, 3, v76
	v_cvt_f32_f64_e32 v0, v[0:1]
	v_cvt_f32_f64_e32 v1, v[4:5]
	v_add_co_u32_e32 v4, vcc, v9, v6
	v_addc_co_u32_e32 v5, vcc, v10, v7, vcc
	global_store_dwordx2 v[4:5], v[0:1], off
	global_load_dwordx2 v[6:7], v76, s[12:13] offset:112
	ds_read2_b64 v[0:3], v11 offset0:14 offset1:28
	v_add_co_u32_e32 v4, vcc, s2, v4
	s_waitcnt vmcnt(0) lgkmcnt(0)
	v_mul_f32_e32 v8, v1, v7
	v_mul_f32_e32 v7, v0, v7
	v_fmac_f32_e32 v8, v0, v6
	v_fma_f32 v6, v6, v1, -v7
	v_cvt_f64_f32_e32 v[0:1], v8
	v_cvt_f64_f32_e32 v[6:7], v6
	v_mov_b32_e32 v8, s3
	v_addc_co_u32_e32 v5, vcc, v5, v8, vcc
	v_mul_f64 v[0:1], v[0:1], s[0:1]
	v_mul_f64 v[6:7], v[6:7], s[0:1]
	v_cvt_f32_f64_e32 v0, v[0:1]
	v_cvt_f32_f64_e32 v1, v[6:7]
	global_store_dwordx2 v[4:5], v[0:1], off
	global_load_dwordx2 v[0:1], v76, s[12:13] offset:224
	v_add_co_u32_e32 v4, vcc, s2, v4
	s_waitcnt vmcnt(0)
	v_mul_f32_e32 v6, v3, v1
	v_mul_f32_e32 v1, v2, v1
	v_fmac_f32_e32 v6, v2, v0
	v_fma_f32 v2, v0, v3, -v1
	v_cvt_f64_f32_e32 v[0:1], v6
	v_cvt_f64_f32_e32 v[2:3], v2
	v_mov_b32_e32 v6, s3
	v_addc_co_u32_e32 v5, vcc, v5, v6, vcc
	v_mul_f64 v[0:1], v[0:1], s[0:1]
	v_mul_f64 v[2:3], v[2:3], s[0:1]
	v_cvt_f32_f64_e32 v0, v[0:1]
	v_cvt_f32_f64_e32 v1, v[2:3]
	global_store_dwordx2 v[4:5], v[0:1], off
	global_load_dwordx2 v[6:7], v76, s[12:13] offset:336
	ds_read2_b64 v[0:3], v11 offset0:42 offset1:56
	v_add_co_u32_e32 v4, vcc, s2, v4
	s_waitcnt vmcnt(0) lgkmcnt(0)
	v_mul_f32_e32 v8, v1, v7
	v_mul_f32_e32 v7, v0, v7
	v_fmac_f32_e32 v8, v0, v6
	v_fma_f32 v6, v6, v1, -v7
	v_cvt_f64_f32_e32 v[0:1], v8
	v_cvt_f64_f32_e32 v[6:7], v6
	v_mov_b32_e32 v8, s3
	v_addc_co_u32_e32 v5, vcc, v5, v8, vcc
	v_mul_f64 v[0:1], v[0:1], s[0:1]
	v_mul_f64 v[6:7], v[6:7], s[0:1]
	v_cvt_f32_f64_e32 v0, v[0:1]
	v_cvt_f32_f64_e32 v1, v[6:7]
	global_store_dwordx2 v[4:5], v[0:1], off
	global_load_dwordx2 v[0:1], v76, s[12:13] offset:448
	v_add_co_u32_e32 v4, vcc, s2, v4
	s_waitcnt vmcnt(0)
	v_mul_f32_e32 v6, v3, v1
	v_mul_f32_e32 v1, v2, v1
	v_fmac_f32_e32 v6, v2, v0
	v_fma_f32 v2, v0, v3, -v1
	v_cvt_f64_f32_e32 v[0:1], v6
	v_cvt_f64_f32_e32 v[2:3], v2
	v_mov_b32_e32 v6, s3
	v_addc_co_u32_e32 v5, vcc, v5, v6, vcc
	v_mul_f64 v[0:1], v[0:1], s[0:1]
	v_mul_f64 v[2:3], v[2:3], s[0:1]
	v_cvt_f32_f64_e32 v0, v[0:1]
	v_cvt_f32_f64_e32 v1, v[2:3]
	;; [unrolled: 33-line block ×3, first 2 shown]
	global_store_dwordx2 v[4:5], v[0:1], off
	global_load_dwordx2 v[6:7], v76, s[12:13] offset:784
	ds_read2_b64 v[0:3], v11 offset0:98 offset1:112
	v_add_co_u32_e32 v4, vcc, s2, v4
	s_waitcnt vmcnt(0) lgkmcnt(0)
	v_mul_f32_e32 v8, v1, v7
	v_mul_f32_e32 v7, v0, v7
	v_fmac_f32_e32 v8, v0, v6
	v_fma_f32 v6, v6, v1, -v7
	v_cvt_f64_f32_e32 v[0:1], v8
	v_cvt_f64_f32_e32 v[6:7], v6
	v_mov_b32_e32 v8, s3
	v_addc_co_u32_e32 v5, vcc, v5, v8, vcc
	v_mul_f64 v[0:1], v[0:1], s[0:1]
	v_mul_f64 v[6:7], v[6:7], s[0:1]
	v_or_b32_e32 v8, 0x70, v75
	v_cvt_f32_f64_e32 v0, v[0:1]
	v_cvt_f32_f64_e32 v1, v[6:7]
	v_mad_u64_u32 v[6:7], s[6:7], s4, v8, 0
	global_store_dwordx2 v[4:5], v[0:1], off
	global_load_dwordx2 v[0:1], v76, s[12:13] offset:896
	v_mad_u64_u32 v[7:8], s[6:7], s5, v8, v[7:8]
	v_lshlrev_b64 v[6:7], 3, v[6:7]
	s_waitcnt vmcnt(0)
	v_mul_f32_e32 v12, v3, v1
	v_mul_f32_e32 v1, v2, v1
	v_fmac_f32_e32 v12, v2, v0
	v_fma_f32 v2, v0, v3, -v1
	v_cvt_f64_f32_e32 v[0:1], v12
	v_cvt_f64_f32_e32 v[2:3], v2
	v_mul_f64 v[0:1], v[0:1], s[0:1]
	v_mul_f64 v[2:3], v[2:3], s[0:1]
	v_cvt_f32_f64_e32 v0, v[0:1]
	v_cvt_f32_f64_e32 v1, v[2:3]
	v_add_co_u32_e32 v2, vcc, v9, v6
	v_addc_co_u32_e32 v3, vcc, v10, v7, vcc
	global_store_dwordx2 v[2:3], v[0:1], off
	global_load_dwordx2 v[6:7], v76, s[12:13] offset:1008
	ds_read2_b64 v[0:3], v11 offset0:126 offset1:140
	s_waitcnt vmcnt(0) lgkmcnt(0)
	v_mul_f32_e32 v8, v1, v7
	v_mul_f32_e32 v7, v0, v7
	v_fmac_f32_e32 v8, v0, v6
	v_fma_f32 v6, v6, v1, -v7
	v_cvt_f64_f32_e32 v[0:1], v8
	v_cvt_f64_f32_e32 v[6:7], v6
	v_mov_b32_e32 v8, 0xe0
	v_mad_u64_u32 v[4:5], s[6:7], s4, v8, v[4:5]
	v_mul_f64 v[0:1], v[0:1], s[0:1]
	v_mul_f64 v[6:7], v[6:7], s[0:1]
	s_mul_i32 s6, s5, 0xe0
	v_add_u32_e32 v5, s6, v5
	v_cvt_f32_f64_e32 v0, v[0:1]
	v_cvt_f32_f64_e32 v1, v[6:7]
	global_store_dwordx2 v[4:5], v[0:1], off
	global_load_dwordx2 v[0:1], v76, s[12:13] offset:1120
	v_add_co_u32_e32 v4, vcc, s2, v4
	s_waitcnt vmcnt(0)
	v_mul_f32_e32 v6, v3, v1
	v_mul_f32_e32 v1, v2, v1
	v_fmac_f32_e32 v6, v2, v0
	v_fma_f32 v2, v0, v3, -v1
	v_cvt_f64_f32_e32 v[0:1], v6
	v_cvt_f64_f32_e32 v[2:3], v2
	v_mov_b32_e32 v6, s3
	v_addc_co_u32_e32 v5, vcc, v5, v6, vcc
	v_mul_f64 v[0:1], v[0:1], s[0:1]
	v_mul_f64 v[2:3], v[2:3], s[0:1]
	v_cvt_f32_f64_e32 v0, v[0:1]
	v_cvt_f32_f64_e32 v1, v[2:3]
	global_store_dwordx2 v[4:5], v[0:1], off
	global_load_dwordx2 v[6:7], v76, s[12:13] offset:1232
	ds_read2_b64 v[0:3], v11 offset0:154 offset1:168
	v_add_co_u32_e32 v4, vcc, s2, v4
	s_waitcnt vmcnt(0) lgkmcnt(0)
	v_mul_f32_e32 v8, v1, v7
	v_mul_f32_e32 v7, v0, v7
	v_fmac_f32_e32 v8, v0, v6
	v_fma_f32 v6, v6, v1, -v7
	v_cvt_f64_f32_e32 v[0:1], v8
	v_cvt_f64_f32_e32 v[6:7], v6
	v_mov_b32_e32 v8, s3
	v_addc_co_u32_e32 v5, vcc, v5, v8, vcc
	v_mul_f64 v[0:1], v[0:1], s[0:1]
	v_mul_f64 v[6:7], v[6:7], s[0:1]
	v_cvt_f32_f64_e32 v0, v[0:1]
	v_cvt_f32_f64_e32 v1, v[6:7]
	global_store_dwordx2 v[4:5], v[0:1], off
	global_load_dwordx2 v[0:1], v76, s[12:13] offset:1344
	v_add_co_u32_e32 v4, vcc, s2, v4
	s_waitcnt vmcnt(0)
	v_mul_f32_e32 v6, v3, v1
	v_mul_f32_e32 v1, v2, v1
	v_fmac_f32_e32 v6, v2, v0
	v_fma_f32 v2, v0, v3, -v1
	v_cvt_f64_f32_e32 v[0:1], v6
	v_cvt_f64_f32_e32 v[2:3], v2
	v_mov_b32_e32 v6, s3
	v_addc_co_u32_e32 v5, vcc, v5, v6, vcc
	v_mul_f64 v[0:1], v[0:1], s[0:1]
	v_mul_f64 v[2:3], v[2:3], s[0:1]
	v_cvt_f32_f64_e32 v0, v[0:1]
	v_cvt_f32_f64_e32 v1, v[2:3]
	global_store_dwordx2 v[4:5], v[0:1], off
	global_load_dwordx2 v[6:7], v76, s[12:13] offset:1456
	ds_read2_b64 v[0:3], v11 offset0:182 offset1:196
	v_add_co_u32_e32 v4, vcc, s2, v4
	s_waitcnt vmcnt(0) lgkmcnt(0)
	v_mul_f32_e32 v8, v1, v7
	v_mul_f32_e32 v7, v0, v7
	v_fmac_f32_e32 v8, v0, v6
	v_fma_f32 v6, v6, v1, -v7
	v_cvt_f64_f32_e32 v[0:1], v8
	v_cvt_f64_f32_e32 v[6:7], v6
	v_mov_b32_e32 v8, s3
	v_addc_co_u32_e32 v5, vcc, v5, v8, vcc
	v_mul_f64 v[0:1], v[0:1], s[0:1]
	v_mul_f64 v[6:7], v[6:7], s[0:1]
	;; [unrolled: 33-line block ×3, first 2 shown]
	v_cvt_f32_f64_e32 v0, v[0:1]
	v_cvt_f32_f64_e32 v1, v[6:7]
	v_or_b32_e32 v6, 0xe0, v75
	global_store_dwordx2 v[4:5], v[0:1], off
	global_load_dwordx2 v[0:1], v76, s[12:13] offset:1792
	v_mad_u64_u32 v[4:5], s[2:3], s4, v6, 0
	s_waitcnt vmcnt(0)
	v_mul_f32_e32 v7, v3, v1
	v_mul_f32_e32 v1, v2, v1
	v_fmac_f32_e32 v7, v2, v0
	v_fma_f32 v2, v0, v3, -v1
	v_cvt_f64_f32_e32 v[0:1], v7
	v_cvt_f64_f32_e32 v[2:3], v2
	v_mul_f64 v[0:1], v[0:1], s[0:1]
	v_mul_f64 v[2:3], v[2:3], s[0:1]
	v_mad_u64_u32 v[5:6], s[0:1], s5, v6, v[5:6]
	v_lshlrev_b64 v[4:5], 3, v[4:5]
	v_cvt_f32_f64_e32 v0, v[0:1]
	v_cvt_f32_f64_e32 v1, v[2:3]
	v_add_co_u32_e32 v2, vcc, v9, v4
	v_addc_co_u32_e32 v3, vcc, v10, v5, vcc
	global_store_dwordx2 v[2:3], v[0:1], off
.LBB0_15:
	s_endpgm
	.section	.rodata,"a",@progbits
	.p2align	6, 0x0
	.amdhsa_kernel bluestein_single_fwd_len238_dim1_sp_op_CI_CI
		.amdhsa_group_segment_fixed_size 5712
		.amdhsa_private_segment_fixed_size 0
		.amdhsa_kernarg_size 104
		.amdhsa_user_sgpr_count 6
		.amdhsa_user_sgpr_private_segment_buffer 1
		.amdhsa_user_sgpr_dispatch_ptr 0
		.amdhsa_user_sgpr_queue_ptr 0
		.amdhsa_user_sgpr_kernarg_segment_ptr 1
		.amdhsa_user_sgpr_dispatch_id 0
		.amdhsa_user_sgpr_flat_scratch_init 0
		.amdhsa_user_sgpr_private_segment_size 0
		.amdhsa_uses_dynamic_stack 0
		.amdhsa_system_sgpr_private_segment_wavefront_offset 0
		.amdhsa_system_sgpr_workgroup_id_x 1
		.amdhsa_system_sgpr_workgroup_id_y 0
		.amdhsa_system_sgpr_workgroup_id_z 0
		.amdhsa_system_sgpr_workgroup_info 0
		.amdhsa_system_vgpr_workitem_id 0
		.amdhsa_next_free_vgpr 198
		.amdhsa_next_free_sgpr 18
		.amdhsa_reserve_vcc 1
		.amdhsa_reserve_flat_scratch 0
		.amdhsa_float_round_mode_32 0
		.amdhsa_float_round_mode_16_64 0
		.amdhsa_float_denorm_mode_32 3
		.amdhsa_float_denorm_mode_16_64 3
		.amdhsa_dx10_clamp 1
		.amdhsa_ieee_mode 1
		.amdhsa_fp16_overflow 0
		.amdhsa_exception_fp_ieee_invalid_op 0
		.amdhsa_exception_fp_denorm_src 0
		.amdhsa_exception_fp_ieee_div_zero 0
		.amdhsa_exception_fp_ieee_overflow 0
		.amdhsa_exception_fp_ieee_underflow 0
		.amdhsa_exception_fp_ieee_inexact 0
		.amdhsa_exception_int_div_zero 0
	.end_amdhsa_kernel
	.text
.Lfunc_end0:
	.size	bluestein_single_fwd_len238_dim1_sp_op_CI_CI, .Lfunc_end0-bluestein_single_fwd_len238_dim1_sp_op_CI_CI
                                        ; -- End function
	.section	.AMDGPU.csdata,"",@progbits
; Kernel info:
; codeLenInByte = 17828
; NumSgprs: 22
; NumVgprs: 198
; ScratchSize: 0
; MemoryBound: 0
; FloatMode: 240
; IeeeMode: 1
; LDSByteSize: 5712 bytes/workgroup (compile time only)
; SGPRBlocks: 2
; VGPRBlocks: 49
; NumSGPRsForWavesPerEU: 22
; NumVGPRsForWavesPerEU: 198
; Occupancy: 1
; WaveLimiterHint : 1
; COMPUTE_PGM_RSRC2:SCRATCH_EN: 0
; COMPUTE_PGM_RSRC2:USER_SGPR: 6
; COMPUTE_PGM_RSRC2:TRAP_HANDLER: 0
; COMPUTE_PGM_RSRC2:TGID_X_EN: 1
; COMPUTE_PGM_RSRC2:TGID_Y_EN: 0
; COMPUTE_PGM_RSRC2:TGID_Z_EN: 0
; COMPUTE_PGM_RSRC2:TIDIG_COMP_CNT: 0
	.type	__hip_cuid_8d365ce147b22475,@object ; @__hip_cuid_8d365ce147b22475
	.section	.bss,"aw",@nobits
	.globl	__hip_cuid_8d365ce147b22475
__hip_cuid_8d365ce147b22475:
	.byte	0                               ; 0x0
	.size	__hip_cuid_8d365ce147b22475, 1

	.ident	"AMD clang version 19.0.0git (https://github.com/RadeonOpenCompute/llvm-project roc-6.4.0 25133 c7fe45cf4b819c5991fe208aaa96edf142730f1d)"
	.section	".note.GNU-stack","",@progbits
	.addrsig
	.addrsig_sym __hip_cuid_8d365ce147b22475
	.amdgpu_metadata
---
amdhsa.kernels:
  - .args:
      - .actual_access:  read_only
        .address_space:  global
        .offset:         0
        .size:           8
        .value_kind:     global_buffer
      - .actual_access:  read_only
        .address_space:  global
        .offset:         8
        .size:           8
        .value_kind:     global_buffer
      - .actual_access:  read_only
        .address_space:  global
        .offset:         16
        .size:           8
        .value_kind:     global_buffer
      - .actual_access:  read_only
        .address_space:  global
        .offset:         24
        .size:           8
        .value_kind:     global_buffer
      - .actual_access:  read_only
        .address_space:  global
        .offset:         32
        .size:           8
        .value_kind:     global_buffer
      - .offset:         40
        .size:           8
        .value_kind:     by_value
      - .address_space:  global
        .offset:         48
        .size:           8
        .value_kind:     global_buffer
      - .address_space:  global
        .offset:         56
        .size:           8
        .value_kind:     global_buffer
      - .address_space:  global
        .offset:         64
        .size:           8
        .value_kind:     global_buffer
      - .address_space:  global
        .offset:         72
        .size:           8
        .value_kind:     global_buffer
      - .offset:         80
        .size:           4
        .value_kind:     by_value
      - .address_space:  global
        .offset:         88
        .size:           8
        .value_kind:     global_buffer
      - .address_space:  global
        .offset:         96
        .size:           8
        .value_kind:     global_buffer
    .group_segment_fixed_size: 5712
    .kernarg_segment_align: 8
    .kernarg_segment_size: 104
    .language:       OpenCL C
    .language_version:
      - 2
      - 0
    .max_flat_workgroup_size: 51
    .name:           bluestein_single_fwd_len238_dim1_sp_op_CI_CI
    .private_segment_fixed_size: 0
    .sgpr_count:     22
    .sgpr_spill_count: 0
    .symbol:         bluestein_single_fwd_len238_dim1_sp_op_CI_CI.kd
    .uniform_work_group_size: 1
    .uses_dynamic_stack: false
    .vgpr_count:     198
    .vgpr_spill_count: 0
    .wavefront_size: 64
amdhsa.target:   amdgcn-amd-amdhsa--gfx906
amdhsa.version:
  - 1
  - 2
...

	.end_amdgpu_metadata
